;; amdgpu-corpus repo=ROCm/rocFFT kind=compiled arch=gfx950 opt=O3
	.text
	.amdgcn_target "amdgcn-amd-amdhsa--gfx950"
	.amdhsa_code_object_version 6
	.protected	fft_rtc_fwd_len2560_factors_4_4_4_10_4_wgs_128_tpt_128_halfLds_sp_ip_CI_unitstride_sbrr_dirReg ; -- Begin function fft_rtc_fwd_len2560_factors_4_4_4_10_4_wgs_128_tpt_128_halfLds_sp_ip_CI_unitstride_sbrr_dirReg
	.globl	fft_rtc_fwd_len2560_factors_4_4_4_10_4_wgs_128_tpt_128_halfLds_sp_ip_CI_unitstride_sbrr_dirReg
	.p2align	8
	.type	fft_rtc_fwd_len2560_factors_4_4_4_10_4_wgs_128_tpt_128_halfLds_sp_ip_CI_unitstride_sbrr_dirReg,@function
fft_rtc_fwd_len2560_factors_4_4_4_10_4_wgs_128_tpt_128_halfLds_sp_ip_CI_unitstride_sbrr_dirReg: ; @fft_rtc_fwd_len2560_factors_4_4_4_10_4_wgs_128_tpt_128_halfLds_sp_ip_CI_unitstride_sbrr_dirReg
; %bb.0:
	s_load_dwordx2 s[8:9], s[0:1], 0x50
	s_load_dwordx4 s[4:7], s[0:1], 0x0
	s_load_dwordx2 s[10:11], s[0:1], 0x18
	v_mov_b32_e32 v6, s2
	v_mov_b32_e32 v4, 0
	v_mov_b32_e32 v7, v4
	s_waitcnt lgkmcnt(0)
	v_cmp_lt_u64_e64 s[2:3], s[6:7], 2
	s_and_b64 vcc, exec, s[2:3]
	v_mov_b64_e32 v[2:3], 0
	s_cbranch_vccnz .LBB0_8
; %bb.1:
	s_load_dwordx2 s[2:3], s[0:1], 0x10
	s_add_u32 s12, s10, 8
	s_addc_u32 s13, s11, 0
	s_mov_b64 s[14:15], 1
	v_mov_b64_e32 v[2:3], 0
	s_waitcnt lgkmcnt(0)
	s_add_u32 s16, s2, 8
	s_addc_u32 s17, s3, 0
.LBB0_2:                                ; =>This Inner Loop Header: Depth=1
	s_load_dwordx2 s[18:19], s[16:17], 0x0
                                        ; implicit-def: $vgpr8_vgpr9
	s_waitcnt lgkmcnt(0)
	v_or_b32_e32 v5, s19, v7
	v_cmp_ne_u64_e32 vcc, 0, v[4:5]
	s_and_saveexec_b64 s[2:3], vcc
	s_xor_b64 s[20:21], exec, s[2:3]
	s_cbranch_execz .LBB0_4
; %bb.3:                                ;   in Loop: Header=BB0_2 Depth=1
	v_cvt_f32_u32_e32 v1, s18
	v_cvt_f32_u32_e32 v5, s19
	s_sub_u32 s2, 0, s18
	s_subb_u32 s3, 0, s19
	v_fmac_f32_e32 v1, 0x4f800000, v5
	v_rcp_f32_e32 v1, v1
	s_nop 0
	v_mul_f32_e32 v1, 0x5f7ffffc, v1
	v_mul_f32_e32 v5, 0x2f800000, v1
	v_trunc_f32_e32 v5, v5
	v_fmac_f32_e32 v1, 0xcf800000, v5
	v_cvt_u32_f32_e32 v5, v5
	v_cvt_u32_f32_e32 v1, v1
	v_mul_lo_u32 v8, s2, v5
	v_mul_hi_u32 v10, s2, v1
	v_mul_lo_u32 v9, s3, v1
	v_add_u32_e32 v10, v10, v8
	v_mul_lo_u32 v12, s2, v1
	v_add_u32_e32 v13, v10, v9
	v_mul_hi_u32 v8, v1, v12
	v_mul_hi_u32 v11, v1, v13
	v_mul_lo_u32 v10, v1, v13
	v_mov_b32_e32 v9, v4
	v_lshl_add_u64 v[8:9], v[8:9], 0, v[10:11]
	v_mul_hi_u32 v11, v5, v12
	v_mul_lo_u32 v12, v5, v12
	v_add_co_u32_e32 v8, vcc, v8, v12
	v_mul_hi_u32 v10, v5, v13
	s_nop 0
	v_addc_co_u32_e32 v8, vcc, v9, v11, vcc
	v_mov_b32_e32 v9, v4
	s_nop 0
	v_addc_co_u32_e32 v11, vcc, 0, v10, vcc
	v_mul_lo_u32 v10, v5, v13
	v_lshl_add_u64 v[8:9], v[8:9], 0, v[10:11]
	v_add_co_u32_e32 v1, vcc, v1, v8
	v_mul_lo_u32 v10, s2, v1
	s_nop 0
	v_addc_co_u32_e32 v5, vcc, v5, v9, vcc
	v_mul_lo_u32 v8, s2, v5
	v_mul_hi_u32 v9, s2, v1
	v_add_u32_e32 v8, v9, v8
	v_mul_lo_u32 v9, s3, v1
	v_add_u32_e32 v12, v8, v9
	v_mul_hi_u32 v14, v5, v10
	v_mul_lo_u32 v15, v5, v10
	v_mul_hi_u32 v9, v1, v12
	v_mul_lo_u32 v8, v1, v12
	v_mul_hi_u32 v10, v1, v10
	v_mov_b32_e32 v11, v4
	v_lshl_add_u64 v[8:9], v[10:11], 0, v[8:9]
	v_add_co_u32_e32 v8, vcc, v8, v15
	v_mul_hi_u32 v13, v5, v12
	s_nop 0
	v_addc_co_u32_e32 v8, vcc, v9, v14, vcc
	v_mul_lo_u32 v10, v5, v12
	s_nop 0
	v_addc_co_u32_e32 v11, vcc, 0, v13, vcc
	v_mov_b32_e32 v9, v4
	v_lshl_add_u64 v[8:9], v[8:9], 0, v[10:11]
	v_add_co_u32_e32 v1, vcc, v1, v8
	v_mul_hi_u32 v10, v6, v1
	s_nop 0
	v_addc_co_u32_e32 v5, vcc, v5, v9, vcc
	v_mad_u64_u32 v[8:9], s[2:3], v6, v5, 0
	v_mov_b32_e32 v11, v4
	v_lshl_add_u64 v[8:9], v[10:11], 0, v[8:9]
	v_mad_u64_u32 v[12:13], s[2:3], v7, v1, 0
	v_add_co_u32_e32 v1, vcc, v8, v12
	v_mad_u64_u32 v[10:11], s[2:3], v7, v5, 0
	s_nop 0
	v_addc_co_u32_e32 v8, vcc, v9, v13, vcc
	v_mov_b32_e32 v9, v4
	s_nop 0
	v_addc_co_u32_e32 v11, vcc, 0, v11, vcc
	v_lshl_add_u64 v[8:9], v[8:9], 0, v[10:11]
	v_mul_lo_u32 v1, s19, v8
	v_mul_lo_u32 v5, s18, v9
	v_mad_u64_u32 v[10:11], s[2:3], s18, v8, 0
	v_add3_u32 v1, v11, v5, v1
	v_sub_u32_e32 v5, v7, v1
	v_mov_b32_e32 v11, s19
	v_sub_co_u32_e32 v14, vcc, v6, v10
	v_lshl_add_u64 v[12:13], v[8:9], 0, 1
	s_nop 0
	v_subb_co_u32_e64 v5, s[2:3], v5, v11, vcc
	v_subrev_co_u32_e64 v10, s[2:3], s18, v14
	v_subb_co_u32_e32 v1, vcc, v7, v1, vcc
	s_nop 0
	v_subbrev_co_u32_e64 v5, s[2:3], 0, v5, s[2:3]
	v_cmp_le_u32_e64 s[2:3], s19, v5
	v_cmp_le_u32_e32 vcc, s19, v1
	s_nop 0
	v_cndmask_b32_e64 v11, 0, -1, s[2:3]
	v_cmp_le_u32_e64 s[2:3], s18, v10
	s_nop 1
	v_cndmask_b32_e64 v10, 0, -1, s[2:3]
	v_cmp_eq_u32_e64 s[2:3], s19, v5
	s_nop 1
	v_cndmask_b32_e64 v5, v11, v10, s[2:3]
	v_lshl_add_u64 v[10:11], v[8:9], 0, 2
	v_cmp_ne_u32_e64 s[2:3], 0, v5
	s_nop 1
	v_cndmask_b32_e64 v5, v13, v11, s[2:3]
	v_cndmask_b32_e64 v11, 0, -1, vcc
	v_cmp_le_u32_e32 vcc, s18, v14
	s_nop 1
	v_cndmask_b32_e64 v13, 0, -1, vcc
	v_cmp_eq_u32_e32 vcc, s19, v1
	s_nop 1
	v_cndmask_b32_e32 v1, v11, v13, vcc
	v_cmp_ne_u32_e32 vcc, 0, v1
	v_cndmask_b32_e64 v1, v12, v10, s[2:3]
	s_nop 0
	v_cndmask_b32_e32 v9, v9, v5, vcc
	v_cndmask_b32_e32 v8, v8, v1, vcc
.LBB0_4:                                ;   in Loop: Header=BB0_2 Depth=1
	s_andn2_saveexec_b64 s[2:3], s[20:21]
	s_cbranch_execz .LBB0_6
; %bb.5:                                ;   in Loop: Header=BB0_2 Depth=1
	v_cvt_f32_u32_e32 v1, s18
	s_sub_i32 s20, 0, s18
	v_rcp_iflag_f32_e32 v1, v1
	s_nop 0
	v_mul_f32_e32 v1, 0x4f7ffffe, v1
	v_cvt_u32_f32_e32 v1, v1
	v_mul_lo_u32 v5, s20, v1
	v_mul_hi_u32 v5, v1, v5
	v_add_u32_e32 v1, v1, v5
	v_mul_hi_u32 v1, v6, v1
	v_mul_lo_u32 v5, v1, s18
	v_sub_u32_e32 v5, v6, v5
	v_add_u32_e32 v8, 1, v1
	v_subrev_u32_e32 v9, s18, v5
	v_cmp_le_u32_e32 vcc, s18, v5
	s_nop 1
	v_cndmask_b32_e32 v5, v5, v9, vcc
	v_cndmask_b32_e32 v1, v1, v8, vcc
	v_add_u32_e32 v8, 1, v1
	v_cmp_le_u32_e32 vcc, s18, v5
	v_mov_b32_e32 v9, v4
	s_nop 0
	v_cndmask_b32_e32 v8, v1, v8, vcc
.LBB0_6:                                ;   in Loop: Header=BB0_2 Depth=1
	s_or_b64 exec, exec, s[2:3]
	v_mad_u64_u32 v[10:11], s[2:3], v8, s18, 0
	s_load_dwordx2 s[2:3], s[12:13], 0x0
	v_mul_lo_u32 v1, v9, s18
	v_mul_lo_u32 v5, v8, s19
	v_add3_u32 v1, v11, v5, v1
	v_sub_co_u32_e32 v5, vcc, v6, v10
	s_add_u32 s14, s14, 1
	s_nop 0
	v_subb_co_u32_e32 v1, vcc, v7, v1, vcc
	s_addc_u32 s15, s15, 0
	s_waitcnt lgkmcnt(0)
	v_mul_lo_u32 v1, s2, v1
	v_mul_lo_u32 v6, s3, v5
	v_mad_u64_u32 v[2:3], s[2:3], s2, v5, v[2:3]
	s_add_u32 s12, s12, 8
	v_add3_u32 v3, v6, v3, v1
	s_addc_u32 s13, s13, 0
	v_mov_b64_e32 v[6:7], s[6:7]
	s_add_u32 s16, s16, 8
	v_cmp_ge_u64_e32 vcc, s[14:15], v[6:7]
	s_addc_u32 s17, s17, 0
	s_cbranch_vccnz .LBB0_9
; %bb.7:                                ;   in Loop: Header=BB0_2 Depth=1
	v_mov_b64_e32 v[6:7], v[8:9]
	s_branch .LBB0_2
.LBB0_8:
	v_mov_b64_e32 v[8:9], v[6:7]
.LBB0_9:
	s_lshl_b64 s[2:3], s[6:7], 3
	s_add_u32 s2, s10, s2
	s_addc_u32 s3, s11, s3
	s_load_dwordx2 s[6:7], s[2:3], 0x0
	s_load_dwordx2 s[10:11], s[0:1], 0x20
                                        ; implicit-def: $sgpr2_sgpr3
                                        ; implicit-def: $vgpr5
                                        ; implicit-def: $vgpr57
                                        ; implicit-def: $vgpr56
	s_waitcnt lgkmcnt(0)
	v_mul_lo_u32 v1, s6, v9
	v_mul_lo_u32 v4, s7, v8
	v_mad_u64_u32 v[2:3], s[0:1], s6, v8, v[2:3]
	v_add3_u32 v3, v4, v3, v1
	v_cmp_gt_u64_e32 vcc, s[10:11], v[8:9]
	v_cmp_le_u64_e64 s[0:1], s[10:11], v[8:9]
                                        ; implicit-def: $vgpr1
	s_and_saveexec_b64 s[6:7], s[0:1]
	s_xor_b64 s[0:1], exec, s[6:7]
; %bb.10:
	v_or_b32_e32 v5, 0x80, v0
	v_or_b32_e32 v1, 0x100, v0
	;; [unrolled: 1-line block ×4, first 2 shown]
	s_mov_b64 s[2:3], 0
; %bb.11:
	s_or_saveexec_b64 s[0:1], s[0:1]
	v_mov_b64_e32 v[10:11], s[2:3]
	v_lshl_add_u64 v[2:3], v[2:3], 3, s[8:9]
	v_lshlrev_b32_e32 v4, 3, v0
	v_mov_b64_e32 v[6:7], s[2:3]
	v_mov_b64_e32 v[42:43], s[2:3]
	;; [unrolled: 1-line block ×9, first 2 shown]
                                        ; implicit-def: $vgpr8
                                        ; implicit-def: $vgpr19
                                        ; implicit-def: $vgpr38
                                        ; implicit-def: $vgpr47
                                        ; implicit-def: $vgpr30
                                        ; implicit-def: $vgpr45
                                        ; implicit-def: $vgpr24
                                        ; implicit-def: $vgpr37
                                        ; implicit-def: $vgpr20
                                        ; implicit-def: $vgpr29
                                        ; implicit-def: $vgpr21
                                        ; implicit-def: $vgpr55
                                        ; implicit-def: $vgpr25
                                        ; implicit-def: $vgpr53
                                        ; implicit-def: $vgpr31
                                        ; implicit-def: $vgpr51
                                        ; implicit-def: $vgpr39
                                        ; implicit-def: $vgpr33
                                        ; implicit-def: $vgpr9
                                        ; implicit-def: $vgpr49
	s_xor_b64 exec, exec, s[0:1]
	s_cbranch_execz .LBB0_13
; %bb.12:
	v_mov_b32_e32 v5, 0
	v_or_b32_e32 v6, 0x1400, v4
	v_mov_b32_e32 v7, v5
	v_lshl_add_u64 v[10:11], v[2:3], 0, v[6:7]
	v_or_b32_e32 v6, 0x2800, v4
	v_lshl_add_u64 v[12:13], v[2:3], 0, v[6:7]
	global_load_dwordx2 v[6:7], v[10:11], off
	global_load_dwordx2 v[8:9], v[12:13], off
	v_or_b32_e32 v10, 0x3c00, v4
	v_mov_b32_e32 v11, v5
	v_lshl_add_u64 v[28:29], v[2:3], 0, v[10:11]
	v_or_b32_e32 v10, 0x1800, v4
	v_lshl_add_u64 v[36:37], v[2:3], 0, v[10:11]
	v_or_b32_e32 v10, 0x2c00, v4
	;; [unrolled: 2-line block ×3, first 2 shown]
	v_mov_b32_e32 v13, v5
	v_or_b32_e32 v14, 0x1c00, v4
	v_mov_b32_e32 v15, v5
	v_or_b32_e32 v16, 0x3000, v4
	v_mov_b32_e32 v17, v5
	v_lshl_add_u64 v[12:13], v[2:3], 0, v[12:13]
	v_lshl_add_u64 v[14:15], v[2:3], 0, v[14:15]
	;; [unrolled: 1-line block ×3, first 2 shown]
	global_load_dwordx2 v[38:39], v[10:11], off
	global_load_dwordx2 v[32:33], v[12:13], off
	;; [unrolled: 1-line block ×4, first 2 shown]
	v_or_b32_e32 v10, 0x4400, v4
	v_mov_b32_e32 v11, v5
	v_lshl_add_u64 v[10:11], v[2:3], 0, v[10:11]
	v_or_b32_e32 v12, 0x2000, v4
	v_mov_b32_e32 v13, v5
	v_or_b32_e32 v14, 0x3400, v4
	v_mov_b32_e32 v15, v5
	v_or_b32_e32 v16, 0x4800, v4
	v_mov_b32_e32 v17, v5
	v_or_b32_e32 v56, 0x200, v0
	v_lshl_add_u64 v[12:13], v[2:3], 0, v[12:13]
	v_lshl_add_u64 v[14:15], v[2:3], 0, v[14:15]
	;; [unrolled: 1-line block ×3, first 2 shown]
	global_load_dwordx2 v[50:51], v[10:11], off
	global_load_dwordx2 v[16:17], v[12:13], off
	;; [unrolled: 1-line block ×4, first 2 shown]
	v_lshlrev_b32_e32 v10, 3, v56
	v_mov_b32_e32 v11, v5
	v_lshl_add_u64 v[44:45], v[2:3], 0, v[10:11]
	v_or_b32_e32 v10, 0x2400, v4
	v_lshl_add_u64 v[46:47], v[2:3], 0, v[10:11]
	v_or_b32_e32 v10, 0x3800, v4
	;; [unrolled: 2-line block ×3, first 2 shown]
	v_lshl_add_u64 v[18:19], v[2:3], 0, v[4:5]
	v_lshl_add_u64 v[60:61], v[2:3], 0, v[10:11]
	global_load_dwordx2 v[12:13], v[44:45], off
	global_load_dwordx2 v[14:15], v[46:47], off
	;; [unrolled: 1-line block ×5, first 2 shown]
	global_load_dwordx2 v[42:43], v[18:19], off offset:1024
	global_load_dwordx2 v[34:35], v[18:19], off offset:2048
	;; [unrolled: 1-line block ×3, first 2 shown]
	global_load_dwordx2 v[48:49], v[28:29], off
	global_load_dwordx2 v[40:41], v[36:37], off
	v_or_b32_e32 v5, 0x80, v0
	v_or_b32_e32 v1, 0x100, v0
	;; [unrolled: 1-line block ×3, first 2 shown]
	s_waitcnt vmcnt(18)
	v_mov_b32_e32 v19, v9
	s_waitcnt vmcnt(17)
	v_mov_b32_e32 v47, v39
	;; [unrolled: 2-line block ×10, first 2 shown]
.LBB0_13:
	s_or_b64 exec, exec, s[0:1]
	v_sub_f32_e32 v44, v23, v51
	v_sub_f32_e32 v51, v42, v38
	s_waitcnt vmcnt(0)
	v_sub_f32_e32 v46, v41, v33
	v_fma_f32 v50, v42, 2.0, -v51
	v_add_f32_e32 v42, v41, v41
	v_add_f32_e32 v48, v43, v43
	v_pk_add_f32 v[42:43], v[42:43], v[46:47] neg_lo:[0,1] neg_hi:[0,1]
	v_sub_f32_e32 v18, v7, v49
	v_mov_b32_e32 v49, v40
	v_mov_b32_e32 v38, v43
	v_pk_add_f32 v[38:39], v[48:49], v[38:39] neg_lo:[0,1] neg_hi:[0,1]
	v_sub_f32_e32 v36, v17, v53
	v_fma_f32 v52, v40, 2.0, -v39
	v_mov_b32_e32 v53, v46
	v_pk_add_f32 v[52:53], v[50:51], v[52:53] neg_lo:[0,1] neg_hi:[0,1]
	v_lshl_add_u32 v40, v5, 4, 0
	v_pk_fma_f32 v[50:51], v[50:51], 2.0, v[52:53] op_sel_hi:[1,0,1] neg_lo:[0,0,1] neg_hi:[0,0,1]
	ds_write2_b64 v40, v[50:51], v[52:53] offset1:1
	v_add_f32_e32 v50, v23, v23
	v_mov_b32_e32 v51, v35
	v_sub_f32_e32 v28, v15, v55
	v_add_f32_e32 v54, v17, v17
	v_pk_add_f32 v[50:51], v[50:51], v[44:45] neg_lo:[0,1] neg_hi:[0,1]
	v_pk_add_f32 v[58:59], v[38:39], v[42:43] neg_lo:[0,1] neg_hi:[0,1]
	v_pk_add_f32 v[60:61], v[38:39], v[42:43]
	v_mov_b32_e32 v39, v43
	v_add_f32_e32 v42, v15, v15
	v_mov_b32_e32 v55, v27
	v_mov_b32_e32 v43, v13
	v_add_f32_e32 v46, v35, v35
	v_sub_f32_e32 v35, v34, v30
	v_mov_b32_e32 v47, v22
	v_mov_b32_e32 v30, v51
	v_pk_add_f32 v[54:55], v[54:55], v[36:37] neg_lo:[0,1] neg_hi:[0,1]
	v_pk_add_f32 v[42:43], v[42:43], v[28:29] neg_lo:[0,1] neg_hi:[0,1]
	v_add_f32_e32 v52, v27, v27
	v_pk_add_f32 v[30:31], v[46:47], v[30:31] neg_lo:[0,1] neg_hi:[0,1]
	v_add_f32_e32 v46, v13, v13
	v_sub_f32_e32 v63, v26, v24
	v_mov_b32_e32 v53, v16
	v_mov_b32_e32 v24, v55
	;; [unrolled: 1-line block ×3, first 2 shown]
	v_sub_f32_e32 v13, v12, v20
	v_mov_b32_e32 v20, v43
	v_pk_add_f32 v[52:53], v[52:53], v[24:25] neg_lo:[0,1] neg_hi:[0,1]
	v_pk_add_f32 v[20:21], v[46:47], v[20:21] neg_lo:[0,1] neg_hi:[0,1]
	v_fma_f32 v34, v34, 2.0, -v35
	v_fma_f32 v22, v22, 2.0, -v31
	v_mov_b32_e32 v23, v44
	v_fma_f32 v62, v26, 2.0, -v63
	v_fma_f32 v16, v16, 2.0, -v53
	v_mov_b32_e32 v17, v36
	;; [unrolled: 3-line block ×3, first 2 shown]
	v_pk_add_f32 v[22:23], v[34:35], v[22:23] neg_lo:[0,1] neg_hi:[0,1]
	v_pk_add_f32 v[16:17], v[62:63], v[16:17] neg_lo:[0,1] neg_hi:[0,1]
	v_pk_add_f32 v[14:15], v[12:13], v[14:15] neg_lo:[0,1] neg_hi:[0,1]
	v_add_f32_e32 v48, v7, v7
	v_lshl_add_u32 v44, v1, 4, 0
	v_pk_fma_f32 v[34:35], v[34:35], 2.0, v[22:23] op_sel_hi:[1,0,1] neg_lo:[0,0,1] neg_hi:[0,0,1]
	v_lshl_add_u32 v27, v57, 4, 0
	v_lshl_add_u32 v41, v56, 4, 0
	v_pk_fma_f32 v[36:37], v[62:63], 2.0, v[16:17] op_sel_hi:[1,0,1] neg_lo:[0,0,1] neg_hi:[0,0,1]
	v_pk_fma_f32 v[12:13], v[12:13], 2.0, v[14:15] op_sel_hi:[1,0,1] neg_lo:[0,0,1] neg_hi:[0,0,1]
	v_mov_b32_e32 v49, v11
	ds_write2_b64 v44, v[34:35], v[22:23] offset1:1
	ds_write2_b64 v27, v[36:37], v[16:17] offset1:1
	;; [unrolled: 1-line block ×3, first 2 shown]
	v_pk_add_f32 v[12:13], v[48:49], v[18:19] neg_lo:[0,1] neg_hi:[0,1]
	v_add_f32_e32 v32, v11, v11
	v_mov_b32_e32 v33, v6
	v_sub_f32_e32 v11, v10, v8
	v_mov_b32_e32 v8, v13
	v_pk_add_f32 v[8:9], v[32:33], v[8:9] neg_lo:[0,1] neg_hi:[0,1]
	v_fma_f32 v10, v10, 2.0, -v11
	v_fma_f32 v6, v6, 2.0, -v9
	v_mov_b32_e32 v7, v18
	v_pk_add_f32 v[14:15], v[8:9], v[12:13] neg_lo:[0,1] neg_hi:[0,1]
	v_pk_add_f32 v[18:19], v[8:9], v[12:13]
	v_lshl_add_u32 v45, v0, 4, 0
	v_pk_add_f32 v[6:7], v[10:11], v[6:7] neg_lo:[0,1] neg_hi:[0,1]
	v_mov_b32_e32 v15, v19
	v_mov_b32_e32 v9, v13
	v_mad_i32_i24 v25, v0, -12, v45
	v_pk_fma_f32 v[10:11], v[10:11], 2.0, v[6:7] op_sel_hi:[1,0,1] neg_lo:[0,0,1] neg_hi:[0,0,1]
	v_pk_fma_f32 v[8:9], v[8:9], 2.0, v[14:15] op_sel_hi:[1,0,1] neg_lo:[0,0,1] neg_hi:[0,0,1]
	v_mad_i32_i24 v22, v5, -12, v40
	v_mad_i32_i24 v23, v1, -12, v44
	;; [unrolled: 1-line block ×3, first 2 shown]
	v_pk_add_f32 v[16:17], v[30:31], v[50:51] neg_lo:[0,1] neg_hi:[0,1]
	v_pk_add_f32 v[36:37], v[30:31], v[50:51]
	v_mov_b32_e32 v31, v51
	v_mad_i32_i24 v35, v56, -12, v41
	ds_write2_b64 v45, v[10:11], v[6:7] offset1:1
	s_waitcnt lgkmcnt(0)
	s_barrier
	ds_read2st64_b32 v[6:7], v25 offset1:10
	ds_read2st64_b32 v[12:13], v25 offset0:20 offset1:22
	ds_read2st64_b32 v[28:29], v25 offset0:28 offset1:30
	;; [unrolled: 1-line block ×7, first 2 shown]
	ds_read_b32 v24, v22
	ds_read_b32 v26, v23
	;; [unrolled: 1-line block ×4, first 2 shown]
	s_waitcnt lgkmcnt(0)
	s_barrier
	ds_write2_b64 v45, v[8:9], v[14:15] offset1:1
	v_pk_add_f32 v[8:9], v[52:53], v[54:55] neg_lo:[0,1] neg_hi:[0,1]
	v_pk_add_f32 v[10:11], v[52:53], v[54:55]
	v_mov_b32_e32 v53, v55
	v_mov_b32_e32 v9, v11
	v_mov_b32_e32 v59, v61
	v_pk_fma_f32 v[14:15], v[52:53], 2.0, v[8:9] op_sel_hi:[1,0,1] neg_lo:[0,0,1] neg_hi:[0,0,1]
	v_pk_add_f32 v[18:19], v[20:21], v[42:43] neg_lo:[0,1] neg_hi:[0,1]
	v_pk_add_f32 v[52:53], v[20:21], v[42:43]
	v_pk_fma_f32 v[38:39], v[38:39], 2.0, v[58:59] op_sel_hi:[1,0,1] neg_lo:[0,0,1] neg_hi:[0,0,1]
	v_mov_b32_e32 v17, v37
	v_mov_b32_e32 v19, v53
	;; [unrolled: 1-line block ×3, first 2 shown]
	v_and_b32_e32 v45, 3, v0
	v_pk_fma_f32 v[30:31], v[30:31], 2.0, v[16:17] op_sel_hi:[1,0,1] neg_lo:[0,0,1] neg_hi:[0,0,1]
	v_pk_fma_f32 v[20:21], v[20:21], 2.0, v[18:19] op_sel_hi:[1,0,1] neg_lo:[0,0,1] neg_hi:[0,0,1]
	ds_write2_b64 v40, v[38:39], v[58:59] offset1:1
	ds_write2_b64 v44, v[30:31], v[16:17] offset1:1
	;; [unrolled: 1-line block ×4, first 2 shown]
	v_mul_u32_u24_e32 v8, 3, v45
	v_lshlrev_b32_e32 v16, 3, v8
	s_waitcnt lgkmcnt(0)
	s_barrier
	global_load_dwordx4 v[8:11], v16, s[4:5]
	global_load_dwordx2 v[14:15], v16, s[4:5] offset:16
	ds_read2st64_b32 v[18:19], v25 offset1:10
	ds_read2st64_b32 v[20:21], v25 offset0:20 offset1:22
	ds_read2st64_b32 v[30:31], v25 offset0:28 offset1:30
	;; [unrolled: 1-line block ×5, first 2 shown]
	v_lshlrev_b32_e32 v17, 2, v0
	s_movk_i32 s0, 0x1f0
	v_lshlrev_b32_e32 v16, 2, v5
	s_mov_b32 s3, 0x3f737871
	s_mov_b32 s2, 0xbf737871
	;; [unrolled: 1-line block ×3, first 2 shown]
	s_waitcnt vmcnt(1) lgkmcnt(5)
	v_mul_f32_e32 v52, v19, v9
	v_fma_f32 v52, v7, v8, -v52
	v_mul_f32_e32 v7, v7, v9
	v_fmac_f32_e32 v7, v19, v8
	s_waitcnt lgkmcnt(4)
	v_mul_f32_e32 v19, v20, v11
	v_fma_f32 v19, v12, v10, -v19
	v_mul_f32_e32 v12, v12, v11
	v_fmac_f32_e32 v12, v20, v10
	v_mul_f32_e32 v20, v21, v11
	v_fma_f32 v53, v13, v10, -v20
	v_mul_f32_e32 v54, v13, v11
	s_waitcnt lgkmcnt(2)
	v_mul_f32_e32 v13, v36, v9
	v_mul_f32_e32 v20, v37, v9
	v_fma_f32 v13, v32, v8, -v13
	v_fmac_f32_e32 v54, v21, v10
	v_mul_f32_e32 v21, v32, v9
	v_fma_f32 v32, v33, v8, -v20
	s_waitcnt lgkmcnt(1)
	v_mul_f32_e32 v20, v38, v11
	v_mul_f32_e32 v55, v33, v9
	v_fma_f32 v33, v48, v10, -v20
	v_mul_f32_e32 v20, v39, v11
	v_fmac_f32_e32 v21, v36, v8
	v_fma_f32 v36, v49, v10, -v20
	s_waitcnt lgkmcnt(0)
	v_mul_f32_e32 v20, v42, v9
	v_fmac_f32_e32 v55, v37, v8
	v_fma_f32 v37, v50, v8, -v20
	v_mul_f32_e32 v50, v50, v9
	v_mul_f32_e32 v48, v48, v11
	v_fmac_f32_e32 v50, v42, v8
	v_mul_f32_e32 v20, v43, v9
	v_mul_f32_e32 v42, v51, v9
	v_fmac_f32_e32 v48, v38, v10
	v_mul_f32_e32 v49, v49, v11
	v_fma_f32 v38, v51, v8, -v20
	v_fmac_f32_e32 v42, v43, v8
	v_mul_f32_e32 v8, v30, v11
	v_fmac_f32_e32 v49, v39, v10
	v_fma_f32 v39, v28, v10, -v8
	v_mul_f32_e32 v28, v28, v11
	v_fmac_f32_e32 v28, v30, v10
	ds_read2st64_b32 v[8:9], v25 offset0:32 offset1:34
	ds_read2st64_b32 v[10:11], v25 offset0:36 offset1:38
	s_waitcnt vmcnt(0)
	v_mul_f32_e32 v20, v31, v15
	v_fma_f32 v20, v29, v14, -v20
	v_mul_f32_e32 v29, v29, v15
	s_waitcnt lgkmcnt(1)
	v_mul_f32_e32 v30, v8, v15
	v_fmac_f32_e32 v29, v31, v14
	v_fma_f32 v30, v46, v14, -v30
	v_mul_f32_e32 v31, v46, v15
	v_mul_f32_e32 v43, v47, v15
	v_mul_f32_e32 v46, v62, v15
	v_fmac_f32_e32 v31, v8, v14
	v_mul_f32_e32 v8, v9, v15
	v_fmac_f32_e32 v43, v9, v14
	s_waitcnt lgkmcnt(0)
	v_mul_f32_e32 v9, v10, v15
	v_fmac_f32_e32 v46, v10, v14
	v_mul_f32_e32 v10, v11, v15
	v_mul_f32_e32 v15, v63, v15
	v_fma_f32 v8, v47, v14, -v8
	v_fma_f32 v9, v62, v14, -v9
	v_fma_f32 v10, v63, v14, -v10
	v_fmac_f32_e32 v15, v11, v14
	v_sub_f32_e32 v11, v6, v19
	v_sub_f32_e32 v14, v52, v20
	v_fma_f32 v6, v6, 2.0, -v11
	v_sub_f32_e32 v29, v7, v29
	v_fma_f32 v19, v52, 2.0, -v14
	v_sub_f32_e32 v52, v6, v19
	v_sub_f32_e32 v61, v11, v29
	v_and_or_b32 v19, v17, s0, v45
	v_fma_f32 v6, v6, 2.0, -v52
	v_fma_f32 v11, v11, 2.0, -v61
	v_lshl_add_u32 v62, v19, 2, 0
	ds_read_b32 v47, v22
	ds_read_b32 v51, v23
	;; [unrolled: 1-line block ×4, first 2 shown]
	s_waitcnt lgkmcnt(0)
	s_barrier
	ds_write2_b32 v62, v6, v11 offset1:4
	v_sub_f32_e32 v6, v18, v12
	v_add_f32_e32 v65, v6, v14
	v_fma_f32 v11, v18, 2.0, -v6
	v_fma_f32 v7, v7, 2.0, -v29
	;; [unrolled: 1-line block ×3, first 2 shown]
	v_sub_f32_e32 v6, v24, v53
	v_sub_f32_e32 v29, v11, v7
	v_fma_f32 v7, v24, 2.0, -v6
	v_sub_f32_e32 v24, v13, v30
	v_fma_f32 v63, v11, 2.0, -v29
	v_sub_f32_e32 v30, v21, v31
	v_fma_f32 v11, v13, 2.0, -v24
	v_sub_f32_e32 v13, v26, v33
	v_sub_f32_e32 v31, v55, v43
	;; [unrolled: 1-line block ×3, first 2 shown]
	s_movk_i32 s0, 0x3f0
	v_sub_f32_e32 v11, v7, v11
	v_sub_f32_e32 v12, v6, v30
	v_fma_f32 v14, v26, 2.0, -v13
	v_sub_f32_e32 v26, v32, v8
	v_fma_f32 v9, v37, 2.0, -v43
	v_and_or_b32 v37, v16, s0, v45
	v_lshlrev_b32_e32 v20, 2, v1
	v_fma_f32 v7, v7, 2.0, -v11
	v_fma_f32 v6, v6, 2.0, -v12
	;; [unrolled: 1-line block ×3, first 2 shown]
	ds_write2_b32 v62, v52, v61 offset0:8 offset1:12
	v_sub_f32_e32 v33, v60, v36
	v_sub_f32_e32 v46, v50, v46
	v_lshl_add_u32 v52, v37, 2, 0
	s_movk_i32 s0, 0x5f0
	v_sub_f32_e32 v8, v14, v8
	v_sub_f32_e32 v32, v13, v31
	ds_write2_b32 v52, v7, v6 offset1:4
	v_sub_f32_e32 v6, v33, v46
	ds_write2_b32 v52, v11, v12 offset0:8 offset1:12
	v_and_or_b32 v11, v20, s0, v45
	v_lshlrev_b32_e32 v19, 2, v57
	v_fma_f32 v14, v14, 2.0, -v8
	v_fma_f32 v13, v13, 2.0, -v32
	;; [unrolled: 1-line block ×4, first 2 shown]
	v_sub_f32_e32 v33, v64, v39
	v_sub_f32_e32 v53, v38, v10
	v_lshl_add_u32 v61, v11, 2, 0
	s_movk_i32 s0, 0x7f0
	v_sub_f32_e32 v9, v36, v9
	v_fma_f32 v37, v64, 2.0, -v33
	v_fma_f32 v10, v38, 2.0, -v53
	ds_write2_b32 v61, v14, v13 offset1:4
	ds_write2_b32 v61, v8, v32 offset0:8 offset1:12
	v_and_or_b32 v8, v19, s0, v45
	v_lshlrev_b32_e32 v18, 2, v56
	v_fma_f32 v36, v36, 2.0, -v9
	v_sub_f32_e32 v60, v42, v15
	v_sub_f32_e32 v10, v37, v10
	v_lshl_add_u32 v64, v8, 2, 0
	s_movk_i32 s0, 0x9f0
	v_fma_f32 v15, v37, 2.0, -v10
	v_sub_f32_e32 v37, v33, v60
	ds_write2_b32 v64, v36, v7 offset1:4
	ds_write2_b32 v64, v9, v6 offset0:8 offset1:12
	v_and_or_b32 v6, v18, s0, v45
	v_fma_f32 v33, v33, 2.0, -v37
	v_lshl_add_u32 v45, v6, 2, 0
	ds_write2_b32 v45, v15, v33 offset1:4
	ds_write2_b32 v45, v10, v37 offset0:8 offset1:12
	s_waitcnt lgkmcnt(0)
	s_barrier
	ds_read2st64_b32 v[6:7], v25 offset1:10
	ds_read2st64_b32 v[32:33], v25 offset0:20 offset1:22
	ds_read2st64_b32 v[10:11], v25 offset0:28 offset1:30
	;; [unrolled: 1-line block ×3, first 2 shown]
	ds_read_b32 v67, v22
	ds_read_b32 v68, v23
	;; [unrolled: 1-line block ×4, first 2 shown]
	ds_read2st64_b32 v[12:13], v25 offset0:32 offset1:34
	ds_read2st64_b32 v[36:37], v25 offset0:24 offset1:26
	;; [unrolled: 1-line block ×4, first 2 shown]
	s_waitcnt lgkmcnt(0)
	s_barrier
	ds_write2_b32 v62, v63, v66 offset1:4
	ds_write2_b32 v62, v29, v65 offset0:8 offset1:12
	v_fma_f32 v29, v55, 2.0, -v31
	v_sub_f32_e32 v31, v47, v54
	v_fma_f32 v21, v21, 2.0, -v30
	v_fma_f32 v30, v50, 2.0, -v46
	;; [unrolled: 1-line block ×3, first 2 shown]
	v_sub_f32_e32 v47, v51, v48
	v_sub_f32_e32 v49, v58, v49
	;; [unrolled: 1-line block ×4, first 2 shown]
	v_add_f32_e32 v24, v31, v24
	v_fma_f32 v48, v51, 2.0, -v47
	v_fma_f32 v50, v58, 2.0, -v49
	;; [unrolled: 1-line block ×6, first 2 shown]
	v_sub_f32_e32 v29, v48, v29
	v_add_f32_e32 v26, v47, v26
	v_sub_f32_e32 v30, v50, v30
	v_add_f32_e32 v43, v49, v43
	;; [unrolled: 2-line block ×3, first 2 shown]
	v_fma_f32 v48, v48, 2.0, -v29
	v_fma_f32 v47, v47, 2.0, -v26
	;; [unrolled: 1-line block ×6, first 2 shown]
	ds_write2_b32 v52, v46, v31 offset1:4
	ds_write2_b32 v52, v21, v24 offset0:8 offset1:12
	ds_write2_b32 v61, v48, v47 offset1:4
	ds_write2_b32 v61, v29, v26 offset0:8 offset1:12
	;; [unrolled: 2-line block ×4, first 2 shown]
	v_and_b32_e32 v21, 15, v0
	v_mul_u32_u24_e32 v24, 3, v21
	v_lshlrev_b32_e32 v24, 3, v24
	s_waitcnt lgkmcnt(0)
	s_barrier
	global_load_dwordx4 v[28:31], v24, s[4:5] offset:96
	global_load_dwordx2 v[42:43], v24, s[4:5] offset:112
	ds_read2st64_b32 v[46:47], v25 offset1:10
	ds_read2st64_b32 v[48:49], v25 offset0:20 offset1:22
	ds_read2st64_b32 v[50:51], v25 offset0:28 offset1:30
	;; [unrolled: 1-line block ×5, first 2 shown]
	s_movk_i32 s0, 0x1c0
	v_and_or_b32 v17, v17, s0, v21
	v_lshl_add_u32 v65, v17, 2, 0
	s_movk_i32 s0, 0x3c0
	s_waitcnt vmcnt(1) lgkmcnt(4)
	v_mul_f32_e32 v24, v48, v31
	v_fma_f32 v24, v32, v30, -v24
	v_mul_f32_e32 v26, v32, v31
	v_mul_f32_e32 v32, v49, v31
	s_waitcnt lgkmcnt(2)
	v_mul_f32_e32 v45, v52, v29
	v_fmac_f32_e32 v26, v48, v30
	v_fma_f32 v32, v33, v30, -v32
	v_mul_f32_e32 v33, v33, v31
	v_fma_f32 v45, v14, v28, -v45
	v_mul_f32_e32 v48, v14, v29
	v_mul_f32_e32 v14, v53, v29
	v_fmac_f32_e32 v33, v49, v30
	v_fmac_f32_e32 v48, v52, v28
	v_fma_f32 v49, v15, v28, -v14
	v_mul_f32_e32 v52, v15, v29
	s_waitcnt lgkmcnt(1)
	v_mul_f32_e32 v14, v54, v31
	v_fmac_f32_e32 v52, v53, v28
	v_fma_f32 v53, v36, v30, -v14
	v_mul_f32_e32 v36, v36, v31
	v_mul_f32_e32 v14, v55, v31
	v_fmac_f32_e32 v36, v54, v30
	v_fma_f32 v54, v37, v30, -v14
	s_waitcnt lgkmcnt(0)
	v_mul_f32_e32 v14, v58, v29
	v_mul_f32_e32 v37, v37, v31
	v_fma_f32 v60, v38, v28, -v14
	v_mul_f32_e32 v14, v59, v29
	v_fmac_f32_e32 v37, v55, v30
	v_fma_f32 v55, v39, v28, -v14
	v_mul_f32_e32 v14, v47, v29
	v_mul_f32_e32 v38, v38, v29
	;; [unrolled: 1-line block ×3, first 2 shown]
	v_fma_f32 v61, v7, v28, -v14
	v_mul_f32_e32 v7, v7, v29
	v_mul_f32_e32 v14, v50, v31
	v_fmac_f32_e32 v38, v58, v28
	v_fmac_f32_e32 v39, v59, v28
	;; [unrolled: 1-line block ×3, first 2 shown]
	v_fma_f32 v28, v10, v30, -v14
	ds_read2st64_b32 v[14:15], v25 offset0:32 offset1:34
	v_mul_f32_e32 v29, v10, v31
	s_waitcnt vmcnt(0)
	v_mul_f32_e32 v10, v51, v43
	v_fmac_f32_e32 v29, v50, v30
	v_fma_f32 v30, v11, v42, -v10
	s_waitcnt lgkmcnt(0)
	v_mul_f32_e32 v10, v14, v43
	v_fma_f32 v47, v12, v42, -v10
	v_mul_f32_e32 v10, v15, v43
	v_mul_f32_e32 v31, v11, v43
	v_fma_f32 v50, v13, v42, -v10
	ds_read2st64_b32 v[10:11], v25 offset0:36 offset1:38
	v_mul_f32_e32 v13, v13, v43
	v_mul_f32_e32 v12, v12, v43
	v_fmac_f32_e32 v13, v15, v42
	v_fmac_f32_e32 v12, v14, v42
	s_waitcnt lgkmcnt(0)
	v_mul_f32_e32 v15, v11, v43
	v_mul_f32_e32 v14, v10, v43
	v_fma_f32 v15, v9, v42, -v15
	v_mul_f32_e32 v9, v9, v43
	v_fmac_f32_e32 v31, v51, v42
	v_fma_f32 v14, v8, v42, -v14
	v_mul_f32_e32 v8, v8, v43
	v_fmac_f32_e32 v9, v11, v42
	v_sub_f32_e32 v11, v46, v26
	v_fmac_f32_e32 v8, v10, v42
	v_sub_f32_e32 v10, v6, v24
	v_fma_f32 v24, v46, 2.0, -v11
	ds_read_b32 v26, v22
	ds_read_b32 v42, v23
	;; [unrolled: 1-line block ×4, first 2 shown]
	v_sub_f32_e32 v30, v61, v30
	v_sub_f32_e32 v31, v7, v31
	v_fma_f32 v51, v61, 2.0, -v30
	v_fma_f32 v7, v7, 2.0, -v31
	v_add_f32_e32 v30, v11, v30
	v_fma_f32 v6, v6, 2.0, -v10
	v_sub_f32_e32 v58, v24, v7
	v_sub_f32_e32 v7, v10, v31
	v_fma_f32 v31, v11, 2.0, -v30
	v_sub_f32_e32 v11, v67, v32
	s_waitcnt lgkmcnt(3)
	v_sub_f32_e32 v32, v26, v33
	v_sub_f32_e32 v12, v48, v12
	;; [unrolled: 1-line block ×3, first 2 shown]
	v_fma_f32 v26, v26, 2.0, -v32
	v_sub_f32_e32 v47, v45, v47
	v_fma_f32 v48, v48, 2.0, -v12
	v_fma_f32 v6, v6, 2.0, -v51
	;; [unrolled: 1-line block ×5, first 2 shown]
	v_sub_f32_e32 v48, v26, v48
	v_sub_f32_e32 v45, v33, v45
	v_fma_f32 v59, v26, 2.0, -v48
	v_sub_f32_e32 v12, v11, v12
	v_sub_f32_e32 v26, v68, v53
	;; [unrolled: 1-line block ×6, first 2 shown]
	s_waitcnt lgkmcnt(0)
	s_barrier
	ds_write2_b32 v65, v6, v10 offset1:16
	ds_write2_b32 v65, v51, v7 offset0:32 offset1:48
	v_and_or_b32 v6, v16, s0, v21
	s_movk_i32 s0, 0x5c0
	v_fma_f32 v33, v33, 2.0, -v45
	v_fma_f32 v11, v11, 2.0, -v12
	;; [unrolled: 1-line block ×3, first 2 shown]
	v_sub_f32_e32 v13, v52, v13
	v_fma_f32 v49, v49, 2.0, -v50
	v_sub_f32_e32 v37, v43, v37
	v_fma_f32 v61, v69, 2.0, -v54
	v_fma_f32 v60, v60, 2.0, -v14
	;; [unrolled: 1-line block ×3, first 2 shown]
	v_sub_f32_e32 v8, v54, v8
	v_sub_f32_e32 v28, v70, v28
	;; [unrolled: 1-line block ×3, first 2 shown]
	v_lshl_add_u32 v51, v6, 2, 0
	v_and_or_b32 v6, v20, s0, v21
	s_movk_i32 s0, 0x7c0
	v_sub_f32_e32 v36, v42, v36
	v_fma_f32 v52, v52, 2.0, -v13
	v_sub_f32_e32 v49, v53, v49
	v_sub_f32_e32 v13, v26, v13
	;; [unrolled: 1-line block ×3, first 2 shown]
	v_add_f32_e32 v62, v37, v14
	v_fma_f32 v14, v54, 2.0, -v8
	v_sub_f32_e32 v29, v46, v29
	v_fma_f32 v54, v70, 2.0, -v28
	v_sub_f32_e32 v9, v39, v9
	v_fma_f32 v55, v55, 2.0, -v15
	ds_write2_b32 v51, v33, v11 offset1:16
	ds_write2_b32 v51, v45, v12 offset0:32 offset1:48
	v_lshl_add_u32 v33, v6, 2, 0
	v_and_or_b32 v6, v19, s0, v21
	s_movk_i32 s0, 0x9c0
	v_fma_f32 v42, v42, 2.0, -v36
	v_fma_f32 v53, v53, 2.0, -v49
	;; [unrolled: 1-line block ×7, first 2 shown]
	v_sub_f32_e32 v55, v54, v55
	v_sub_f32_e32 v9, v28, v9
	v_lshl_add_u32 v45, v6, 2, 0
	v_and_or_b32 v6, v18, s0, v21
	v_fma_f32 v24, v24, 2.0, -v58
	v_add_f32_e32 v47, v32, v47
	v_sub_f32_e32 v52, v42, v52
	v_add_f32_e32 v50, v36, v50
	v_sub_f32_e32 v38, v43, v38
	v_sub_f32_e32 v39, v46, v39
	v_fma_f32 v54, v54, 2.0, -v55
	v_add_f32_e32 v63, v29, v15
	v_fma_f32 v15, v28, 2.0, -v9
	ds_write2_b32 v33, v53, v26 offset1:16
	ds_write2_b32 v33, v49, v13 offset0:32 offset1:48
	ds_write2_b32 v45, v61, v14 offset1:16
	ds_write2_b32 v45, v60, v8 offset0:32 offset1:48
	v_lshl_add_u32 v8, v6, 2, 0
	v_fma_f32 v32, v32, 2.0, -v47
	v_fma_f32 v42, v42, 2.0, -v52
	;; [unrolled: 1-line block ×7, first 2 shown]
	ds_write2_b32 v8, v54, v15 offset1:16
	ds_write2_b32 v8, v55, v9 offset0:32 offset1:48
	s_waitcnt lgkmcnt(0)
	s_barrier
	ds_read2st64_b32 v[6:7], v25 offset1:6
	ds_read2st64_b32 v[28:29], v25 offset0:10 offset1:12
	ds_read2st64_b32 v[20:21], v25 offset0:14 offset1:16
	;; [unrolled: 1-line block ×7, first 2 shown]
	ds_read_b32 v54, v35
	ds_read_b32 v55, v23
	;; [unrolled: 1-line block ×3, first 2 shown]
	ds_read_b32 v66, v25 offset:9728
	s_waitcnt lgkmcnt(0)
	s_barrier
	ds_write2_b32 v65, v24, v31 offset1:16
	ds_write2_b32 v65, v58, v30 offset0:32 offset1:48
	ds_write2_b32 v51, v59, v32 offset1:16
	ds_write2_b32 v51, v48, v47 offset0:32 offset1:48
	;; [unrolled: 2-line block ×5, first 2 shown]
	v_and_b32_e32 v24, 63, v0
	v_mul_u32_u24_e32 v8, 9, v24
	v_lshlrev_b32_e32 v8, 3, v8
	s_waitcnt lgkmcnt(0)
	s_barrier
	global_load_dwordx4 v[36:39], v8, s[4:5] offset:480
	global_load_dwordx4 v[46:49], v8, s[4:5] offset:496
	;; [unrolled: 1-line block ×4, first 2 shown]
	global_load_dwordx2 v[32:33], v8, s[4:5] offset:544
	ds_read_b32 v31, v23
	ds_read2st64_b32 v[8:9], v25 offset1:6
	ds_read_b32 v45, v35
	ds_read2st64_b32 v[42:43], v25 offset0:10 offset1:12
	ds_read_b32 v30, v22
	s_mov_b32 s0, 0x3f167918
	s_waitcnt vmcnt(4)
	v_mul_f32_e32 v63, v55, v37
	s_waitcnt lgkmcnt(4)
	v_mul_f32_e32 v62, v31, v37
	v_fmac_f32_e32 v63, v31, v36
	s_waitcnt lgkmcnt(2)
	v_mul_f32_e32 v31, v45, v39
	v_fma_f32 v64, v54, v38, -v31
	v_mul_f32_e32 v31, v9, v37
	v_fma_f32 v31, v7, v36, -v31
	v_mul_f32_e32 v7, v7, v37
	v_fma_f32 v62, v55, v36, -v62
	v_mul_f32_e32 v65, v54, v39
	v_fmac_f32_e32 v7, v9, v36
	s_waitcnt lgkmcnt(1)
	v_mul_f32_e32 v9, v42, v39
	v_mul_f32_e32 v36, v28, v39
	v_fmac_f32_e32 v65, v45, v38
	v_fma_f32 v37, v28, v38, -v9
	v_fmac_f32_e32 v36, v42, v38
	ds_read2st64_b32 v[38:39], v25 offset0:14 offset1:16
	ds_read2st64_b32 v[54:55], v25 offset0:18 offset1:20
	s_waitcnt vmcnt(3)
	v_mul_f32_e32 v9, v43, v47
	v_fma_f32 v42, v29, v46, -v9
	v_mul_f32_e32 v45, v29, v47
	s_waitcnt lgkmcnt(1)
	v_mul_f32_e32 v9, v39, v49
	v_fmac_f32_e32 v45, v43, v46
	v_fma_f32 v43, v21, v48, -v9
	v_mul_f32_e32 v9, v38, v47
	v_mul_f32_e32 v67, v21, v49
	v_fma_f32 v21, v20, v46, -v9
	v_mul_f32_e32 v9, v20, v47
	v_fmac_f32_e32 v67, v39, v48
	v_fmac_f32_e32 v9, v38, v46
	ds_read2st64_b32 v[28:29], v25 offset0:22 offset1:24
	ds_read2st64_b32 v[38:39], v25 offset0:26 offset1:28
	s_waitcnt lgkmcnt(2)
	v_mul_f32_e32 v20, v54, v49
	v_fma_f32 v46, v18, v48, -v20
	v_mul_f32_e32 v20, v18, v49
	s_waitcnt vmcnt(2)
	v_mul_f32_e32 v18, v55, v51
	v_fma_f32 v47, v19, v50, -v18
	s_waitcnt lgkmcnt(1)
	v_mul_f32_e32 v18, v29, v53
	v_fmac_f32_e32 v20, v54, v48
	v_fma_f32 v48, v17, v52, -v18
	v_mul_f32_e32 v18, v28, v51
	v_mul_f32_e32 v19, v19, v51
	v_fma_f32 v18, v16, v50, -v18
	v_mul_f32_e32 v16, v16, v51
	v_fmac_f32_e32 v19, v55, v50
	v_mul_f32_e32 v17, v17, v53
	v_fmac_f32_e32 v16, v28, v50
	s_waitcnt lgkmcnt(0)
	v_mul_f32_e32 v28, v38, v53
	v_mul_f32_e32 v50, v14, v53
	v_fmac_f32_e32 v17, v29, v52
	v_fma_f32 v49, v14, v52, -v28
	v_fmac_f32_e32 v50, v38, v52
	s_waitcnt vmcnt(1)
	v_mul_f32_e32 v52, v15, v59
	v_mul_f32_e32 v14, v39, v59
	v_fmac_f32_e32 v52, v39, v58
	ds_read2st64_b32 v[38:39], v25 offset0:34 offset1:36
	ds_read2st64_b32 v[28:29], v25 offset0:30 offset1:32
	v_fma_f32 v51, v15, v58, -v14
	v_mul_f32_e32 v55, v10, v61
	s_waitcnt lgkmcnt(1)
	v_mul_f32_e32 v15, v38, v61
	v_fma_f32 v54, v10, v60, -v15
	ds_read_b32 v10, v25 offset:9728
	s_waitcnt lgkmcnt(1)
	v_mul_f32_e32 v14, v29, v61
	v_fma_f32 v53, v13, v60, -v14
	v_mul_f32_e32 v14, v28, v59
	v_fma_f32 v14, v12, v58, -v14
	v_mul_f32_e32 v12, v12, v59
	s_waitcnt vmcnt(0)
	v_mul_f32_e32 v15, v39, v33
	v_fmac_f32_e32 v12, v28, v58
	v_fma_f32 v28, v11, v32, -v15
	s_waitcnt lgkmcnt(0)
	v_mul_f32_e32 v15, v10, v33
	v_fma_f32 v58, v66, v32, -v15
	v_mul_f32_e32 v15, v66, v33
	v_mul_f32_e32 v13, v13, v61
	;; [unrolled: 1-line block ×3, first 2 shown]
	v_fmac_f32_e32 v15, v10, v32
	v_add_f32_e32 v10, v43, v48
	v_fmac_f32_e32 v13, v29, v60
	v_fmac_f32_e32 v11, v39, v32
	v_fma_f32 v29, -0.5, v10, v6
	v_sub_f32_e32 v10, v64, v43
	v_sub_f32_e32 v32, v53, v48
	v_add_f32_e32 v10, v10, v32
	v_sub_f32_e32 v32, v65, v13
	v_fmac_f32_e32 v55, v38, v60
	v_fmamk_f32 v33, v32, 0x3f737871, v29
	v_sub_f32_e32 v38, v67, v17
	v_fmac_f32_e32 v29, 0xbf737871, v32
	v_fmac_f32_e32 v33, 0x3f167918, v38
	;; [unrolled: 1-line block ×3, first 2 shown]
	v_add_f32_e32 v39, v64, v53
	v_fmac_f32_e32 v33, 0x3e9e377a, v10
	v_fmac_f32_e32 v29, 0x3e9e377a, v10
	v_add_f32_e32 v10, v6, v64
	v_fmac_f32_e32 v6, -0.5, v39
	v_sub_f32_e32 v39, v43, v64
	v_sub_f32_e32 v59, v48, v53
	v_add_f32_e32 v39, v39, v59
	v_fmamk_f32 v59, v38, 0xbf737871, v6
	v_fmac_f32_e32 v6, 0x3f737871, v38
	v_fmac_f32_e32 v59, 0x3f167918, v32
	;; [unrolled: 1-line block ×5, first 2 shown]
	v_add_f32_e32 v10, v10, v43
	v_sub_f32_e32 v38, v43, v48
	v_sub_f32_e32 v39, v65, v67
	;; [unrolled: 1-line block ×3, first 2 shown]
	v_add_f32_e32 v10, v10, v48
	v_add_f32_e32 v39, v39, v43
	;; [unrolled: 1-line block ×4, first 2 shown]
	v_sub_f32_e32 v10, v64, v53
	v_fma_f32 v48, -0.5, v43, v8
	v_fmamk_f32 v53, v10, 0xbf737871, v48
	v_fmac_f32_e32 v48, 0x3f737871, v10
	v_fmac_f32_e32 v53, 0xbf167918, v38
	;; [unrolled: 1-line block ×5, first 2 shown]
	v_add_f32_e32 v39, v8, v65
	v_add_f32_e32 v43, v65, v13
	;; [unrolled: 1-line block ×3, first 2 shown]
	v_fmac_f32_e32 v8, -0.5, v43
	v_add_f32_e32 v39, v39, v17
	v_sub_f32_e32 v43, v67, v65
	v_add_f32_e32 v39, v39, v13
	v_sub_f32_e32 v13, v17, v13
	v_fmamk_f32 v60, v38, 0x3f737871, v8
	v_fmac_f32_e32 v8, 0xbf737871, v38
	v_add_f32_e32 v13, v43, v13
	v_fmac_f32_e32 v60, 0xbf167918, v10
	v_fmac_f32_e32 v8, 0x3f167918, v10
	v_add_f32_e32 v10, v47, v51
	v_fmac_f32_e32 v60, 0x3e9e377a, v13
	v_fmac_f32_e32 v8, 0x3e9e377a, v13
	v_fma_f32 v13, -0.5, v10, v62
	v_sub_f32_e32 v10, v42, v47
	v_sub_f32_e32 v17, v28, v51
	v_add_f32_e32 v10, v10, v17
	v_sub_f32_e32 v17, v45, v11
	v_fmamk_f32 v38, v17, 0x3f737871, v13
	v_sub_f32_e32 v43, v19, v52
	v_fmac_f32_e32 v13, 0xbf737871, v17
	v_fmac_f32_e32 v38, 0x3f167918, v43
	;; [unrolled: 1-line block ×5, first 2 shown]
	v_add_f32_e32 v10, v62, v42
	v_add_f32_e32 v61, v42, v28
	v_fmac_f32_e32 v62, -0.5, v61
	v_sub_f32_e32 v61, v47, v42
	v_sub_f32_e32 v64, v51, v28
	v_add_f32_e32 v10, v10, v47
	v_add_f32_e32 v61, v61, v64
	v_fmamk_f32 v64, v43, 0xbf737871, v62
	v_fmac_f32_e32 v62, 0x3f737871, v43
	v_add_f32_e32 v10, v10, v51
	v_fmac_f32_e32 v64, 0x3f167918, v17
	v_fmac_f32_e32 v62, 0xbf167918, v17
	v_add_f32_e32 v17, v10, v28
	v_sub_f32_e32 v10, v42, v28
	v_sub_f32_e32 v42, v45, v19
	;; [unrolled: 1-line block ×3, first 2 shown]
	v_add_f32_e32 v42, v42, v43
	v_add_f32_e32 v43, v19, v52
	v_fma_f32 v43, -0.5, v43, v63
	v_sub_f32_e32 v28, v47, v51
	v_fmamk_f32 v47, v10, 0xbf737871, v43
	v_fmac_f32_e32 v43, 0x3f737871, v10
	v_fmac_f32_e32 v47, 0xbf167918, v28
	;; [unrolled: 1-line block ×5, first 2 shown]
	v_add_f32_e32 v42, v63, v45
	v_add_f32_e32 v42, v42, v19
	;; [unrolled: 1-line block ×4, first 2 shown]
	v_fmac_f32_e32 v63, -0.5, v51
	v_sub_f32_e32 v19, v19, v45
	v_add_f32_e32 v45, v42, v11
	v_sub_f32_e32 v11, v52, v11
	v_add_f32_e32 v11, v19, v11
	v_fmamk_f32 v19, v28, 0x3f737871, v63
	v_fmac_f32_e32 v63, 0xbf737871, v28
	v_fmac_f32_e32 v62, 0x3e9e377a, v61
	;; [unrolled: 1-line block ×6, first 2 shown]
	v_mul_f32_e32 v11, 0x3e9e377a, v62
	v_fma_f32 v28, v63, s3, -v11
	v_add_f32_e32 v11, v6, v28
	v_sub_f32_e32 v6, v6, v28
	v_mul_f32_e32 v28, 0x3f167918, v47
	v_mul_f32_e32 v42, 0x3e9e377a, v63
	v_fmac_f32_e32 v64, 0x3e9e377a, v61
	v_fmac_f32_e32 v28, 0x3f4f1bbd, v38
	v_mul_f32_e32 v38, 0xbf167918, v38
	v_fma_f32 v52, v62, s2, -v42
	v_mul_f32_e32 v42, 0x3f4f1bbd, v13
	v_fmac_f32_e32 v38, 0x3f4f1bbd, v47
	v_mul_f32_e32 v51, 0xbf737871, v64
	v_fma_f32 v62, v43, s0, -v42
	v_mul_f32_e32 v42, 0x3f4f1bbd, v43
	v_add_f32_e32 v10, v32, v17
	v_mul_f32_e32 v47, 0x3f737871, v19
	v_fmac_f32_e32 v51, 0x3e9e377a, v19
	v_fma_f32 v63, v13, s1, -v42
	v_sub_f32_e32 v65, v32, v17
	v_add_f32_e32 v43, v53, v38
	v_add_f32_e32 v17, v8, v52
	v_sub_f32_e32 v32, v53, v38
	v_sub_f32_e32 v38, v8, v52
	v_add_f32_e32 v8, v46, v49
	v_add_f32_e32 v61, v33, v28
	v_fmac_f32_e32 v47, 0x3e9e377a, v64
	v_add_f32_e32 v64, v29, v62
	v_add_f32_e32 v42, v39, v45
	v_sub_f32_e32 v66, v33, v28
	v_add_f32_e32 v13, v60, v51
	v_sub_f32_e32 v62, v29, v62
	v_sub_f32_e32 v28, v39, v45
	v_add_f32_e32 v29, v48, v63
	v_sub_f32_e32 v33, v60, v51
	v_sub_f32_e32 v39, v48, v63
	v_fma_f32 v8, -0.5, v8, v26
	v_sub_f32_e32 v45, v36, v55
	v_sub_f32_e32 v48, v37, v46
	;; [unrolled: 1-line block ×3, first 2 shown]
	v_add_f32_e32 v19, v59, v47
	v_sub_f32_e32 v59, v59, v47
	v_fmamk_f32 v47, v45, 0x3f737871, v8
	v_add_f32_e32 v48, v48, v51
	v_sub_f32_e32 v51, v20, v50
	v_fmac_f32_e32 v8, 0xbf737871, v45
	v_fmac_f32_e32 v47, 0x3f167918, v51
	;; [unrolled: 1-line block ×3, first 2 shown]
	v_add_f32_e32 v52, v37, v54
	v_fmac_f32_e32 v47, 0x3e9e377a, v48
	v_fmac_f32_e32 v8, 0x3e9e377a, v48
	v_add_f32_e32 v48, v26, v37
	v_fmac_f32_e32 v26, -0.5, v52
	v_sub_f32_e32 v52, v46, v37
	v_sub_f32_e32 v53, v49, v54
	v_add_f32_e32 v52, v52, v53
	v_fmamk_f32 v53, v51, 0xbf737871, v26
	v_fmac_f32_e32 v26, 0x3f737871, v51
	v_fmac_f32_e32 v53, 0x3f167918, v45
	;; [unrolled: 1-line block ×3, first 2 shown]
	v_add_f32_e32 v45, v48, v46
	v_add_f32_e32 v48, v20, v50
	v_fma_f32 v60, -0.5, v48, v30
	v_sub_f32_e32 v37, v37, v54
	v_add_f32_e32 v45, v45, v49
	v_sub_f32_e32 v46, v46, v49
	v_sub_f32_e32 v48, v36, v20
	;; [unrolled: 1-line block ×3, first 2 shown]
	v_fmamk_f32 v51, v37, 0xbf737871, v60
	v_fmac_f32_e32 v60, 0x3f737871, v37
	v_add_f32_e32 v48, v48, v49
	v_fmac_f32_e32 v51, 0xbf167918, v46
	v_fmac_f32_e32 v60, 0x3f167918, v46
	;; [unrolled: 1-line block ×4, first 2 shown]
	v_add_f32_e32 v48, v30, v36
	v_add_f32_e32 v49, v36, v55
	;; [unrolled: 1-line block ×3, first 2 shown]
	v_fmac_f32_e32 v30, -0.5, v49
	v_add_f32_e32 v48, v48, v50
	v_fmac_f32_e32 v53, 0x3e9e377a, v52
	v_fmac_f32_e32 v26, 0x3e9e377a, v52
	v_add_f32_e32 v52, v48, v55
	v_sub_f32_e32 v20, v20, v36
	v_fmamk_f32 v36, v46, 0x3f737871, v30
	v_sub_f32_e32 v48, v50, v55
	v_fmac_f32_e32 v30, 0xbf737871, v46
	v_fmac_f32_e32 v36, 0xbf167918, v37
	v_add_f32_e32 v20, v20, v48
	v_fmac_f32_e32 v30, 0x3f167918, v37
	v_fmac_f32_e32 v36, 0x3e9e377a, v20
	;; [unrolled: 1-line block ×3, first 2 shown]
	v_add_f32_e32 v20, v18, v14
	v_fma_f32 v20, -0.5, v20, v31
	v_sub_f32_e32 v37, v9, v15
	v_sub_f32_e32 v48, v21, v18
	;; [unrolled: 1-line block ×3, first 2 shown]
	v_fmamk_f32 v46, v37, 0x3f737871, v20
	v_add_f32_e32 v48, v48, v49
	v_sub_f32_e32 v49, v16, v12
	v_fmac_f32_e32 v20, 0xbf737871, v37
	v_fmac_f32_e32 v46, 0x3f167918, v49
	v_fmac_f32_e32 v20, 0xbf167918, v49
	v_add_f32_e32 v50, v21, v58
	v_add_f32_e32 v45, v45, v54
	v_fmac_f32_e32 v46, 0x3e9e377a, v48
	v_fmac_f32_e32 v20, 0x3e9e377a, v48
	v_add_f32_e32 v48, v31, v21
	v_fmac_f32_e32 v31, -0.5, v50
	v_sub_f32_e32 v50, v18, v21
	v_sub_f32_e32 v54, v14, v58
	v_add_f32_e32 v50, v50, v54
	v_fmamk_f32 v54, v49, 0xbf737871, v31
	v_fmac_f32_e32 v31, 0x3f737871, v49
	v_fmac_f32_e32 v54, 0x3f167918, v37
	;; [unrolled: 1-line block ×3, first 2 shown]
	v_add_f32_e32 v37, v48, v18
	v_add_f32_e32 v48, v16, v12
	v_add_f32_e32 v37, v37, v14
	v_fma_f32 v48, -0.5, v48, v7
	v_sub_f32_e32 v21, v21, v58
	v_sub_f32_e32 v14, v18, v14
	;; [unrolled: 1-line block ×4, first 2 shown]
	v_add_f32_e32 v18, v18, v49
	v_fmamk_f32 v49, v21, 0xbf737871, v48
	v_fmac_f32_e32 v48, 0x3f737871, v21
	v_fmac_f32_e32 v49, 0xbf167918, v14
	v_fmac_f32_e32 v48, 0x3f167918, v14
	v_fmac_f32_e32 v54, 0x3e9e377a, v50
	v_fmac_f32_e32 v31, 0x3e9e377a, v50
	v_fmac_f32_e32 v49, 0x3e9e377a, v18
	v_fmac_f32_e32 v48, 0x3e9e377a, v18
	v_add_f32_e32 v18, v7, v9
	v_add_f32_e32 v50, v9, v15
	v_fmac_f32_e32 v7, -0.5, v50
	v_add_f32_e32 v18, v18, v16
	v_add_f32_e32 v18, v18, v12
	v_sub_f32_e32 v9, v16, v9
	v_fmamk_f32 v16, v14, 0x3f737871, v7
	v_sub_f32_e32 v12, v12, v15
	v_fmac_f32_e32 v7, 0xbf737871, v14
	v_fmac_f32_e32 v16, 0xbf167918, v21
	v_add_f32_e32 v9, v9, v12
	v_fmac_f32_e32 v7, 0x3f167918, v21
	v_mul_f32_e32 v12, 0x3f167918, v49
	v_fmac_f32_e32 v16, 0x3e9e377a, v9
	v_fmac_f32_e32 v7, 0x3e9e377a, v9
	;; [unrolled: 1-line block ×3, first 2 shown]
	v_mul_f32_e32 v55, 0xbf167918, v46
	v_mul_f32_e32 v46, 0x3e9e377a, v31
	v_add_f32_e32 v18, v18, v15
	v_mul_f32_e32 v15, 0x3f737871, v16
	v_fmac_f32_e32 v55, 0x3f4f1bbd, v49
	v_fma_f32 v49, v7, s3, -v46
	v_mul_f32_e32 v7, 0x3e9e377a, v7
	v_fmac_f32_e32 v15, 0x3e9e377a, v54
	v_fma_f32 v7, v31, s2, -v7
	v_mul_f32_e32 v31, 0x3f4f1bbd, v20
	v_add_f32_e32 v21, v53, v15
	v_fma_f32 v31, v48, s0, -v31
	v_mul_f32_e32 v46, 0x3f4f1bbd, v48
	v_sub_f32_e32 v15, v53, v15
	v_add_f32_e32 v48, v30, v7
	v_sub_f32_e32 v53, v30, v7
	v_lshrrev_b32_e32 v7, 6, v0
	v_mul_u32_u24_e32 v7, 0x280, v7
	v_or_b32_e32 v7, v7, v24
	v_fma_f32 v20, v20, s1, -v46
	v_add_f32_e32 v46, v51, v55
	v_sub_f32_e32 v51, v51, v55
	v_lshl_add_u32 v55, v7, 2, 0
	s_barrier
	s_movk_i32 s0, 0x280
	ds_write2st64_b32 v55, v10, v61 offset1:1
	ds_write2st64_b32 v55, v19, v11 offset0:2 offset1:3
	ds_write2st64_b32 v55, v64, v65 offset0:4 offset1:5
	;; [unrolled: 1-line block ×4, first 2 shown]
	v_lshrrev_b32_e32 v6, 6, v5
	v_mul_lo_u32 v6, v6, s0
	v_add_f32_e32 v37, v37, v58
	v_mul_f32_e32 v54, 0xbf737871, v54
	v_or_b32_e32 v6, v6, v24
	v_add_f32_e32 v9, v45, v37
	v_add_f32_e32 v14, v47, v12
	v_fmac_f32_e32 v54, 0x3e9e377a, v16
	v_add_f32_e32 v16, v26, v49
	v_add_f32_e32 v58, v8, v31
	v_sub_f32_e32 v37, v45, v37
	v_sub_f32_e32 v12, v47, v12
	;; [unrolled: 1-line block ×4, first 2 shown]
	v_lshl_add_u32 v59, v6, 2, 0
	v_add_f32_e32 v45, v52, v18
	v_add_f32_e32 v47, v36, v54
	;; [unrolled: 1-line block ×3, first 2 shown]
	v_sub_f32_e32 v50, v52, v18
	v_sub_f32_e32 v52, v36, v54
	;; [unrolled: 1-line block ×3, first 2 shown]
	ds_write2st64_b32 v59, v9, v14 offset1:1
	ds_write2st64_b32 v59, v21, v16 offset0:2 offset1:3
	ds_write2st64_b32 v59, v58, v37 offset0:4 offset1:5
	;; [unrolled: 1-line block ×4, first 2 shown]
	s_waitcnt lgkmcnt(0)
	s_barrier
	ds_read2st64_b32 v[36:37], v25 offset1:10
	ds_read2st64_b32 v[30:31], v25 offset0:20 offset1:22
	ds_read2st64_b32 v[10:11], v25 offset0:28 offset1:30
	;; [unrolled: 1-line block ×7, first 2 shown]
	ds_read_b32 v26, v22
	ds_read_b32 v24, v23
	;; [unrolled: 1-line block ×4, first 2 shown]
	s_waitcnt lgkmcnt(0)
	s_barrier
	ds_write2st64_b32 v55, v42, v43 offset1:1
	ds_write2st64_b32 v55, v13, v17 offset0:2 offset1:3
	ds_write2st64_b32 v55, v29, v28 offset0:4 offset1:5
	;; [unrolled: 1-line block ×4, first 2 shown]
	ds_write2st64_b32 v59, v45, v46 offset1:1
	ds_write2st64_b32 v59, v47, v48 offset0:2 offset1:3
	ds_write2st64_b32 v59, v49, v50 offset0:4 offset1:5
	;; [unrolled: 1-line block ×4, first 2 shown]
	s_waitcnt lgkmcnt(0)
	s_barrier
	s_and_saveexec_b64 s[0:1], vcc
	s_cbranch_execz .LBB0_15
; %bb.14:
	v_mul_i32_i24_e32 v22, 3, v56
	v_mov_b32_e32 v23, 0
	v_lshl_add_u64 v[28:29], v[22:23], 3, s[4:5]
	v_mul_i32_i24_e32 v22, 3, v57
	v_lshl_add_u64 v[34:35], v[22:23], 3, s[4:5]
	v_mul_i32_i24_e32 v22, 3, v1
	;; [unrolled: 2-line block ×3, first 2 shown]
	v_mul_u32_u24_e32 v13, 3, v0
	v_lshl_add_u64 v[58:59], v[22:23], 3, s[4:5]
	v_lshlrev_b32_e32 v22, 3, v13
	v_lshl_add_u64 v[32:33], s[4:5], 0, v[22:23]
	s_movk_i32 s2, 0x1000
	v_add_co_u32_e32 v38, vcc, s2, v32
	s_mov_b64 s[0:1], 0x13e0
	s_nop 0
	v_addc_co_u32_e32 v39, vcc, 0, v33, vcc
	v_lshl_add_u64 v[32:33], v[32:33], 0, s[0:1]
	global_load_dwordx4 v[46:49], v[38:39], off offset:992
	global_load_dwordx2 v[60:61], v[32:33], off offset:16
	v_add_co_u32_e32 v32, vcc, s2, v58
	v_mov_b32_e32 v68, v11
	s_nop 0
	v_addc_co_u32_e32 v33, vcc, 0, v59, vcc
	global_load_dwordx4 v[50:53], v[32:33], off offset:992
	v_mov_b32_e32 v70, v11
	v_mul_i32_i24_e32 v11, -12, v5
	v_mul_i32_i24_e32 v5, -12, v57
	;; [unrolled: 1-line block ×3, first 2 shown]
	v_lshl_add_u64 v[56:57], v[58:59], 0, s[0:1]
	ds_read2st64_b32 v[62:63], v25 offset1:10
	ds_read2st64_b32 v[64:65], v25 offset0:20 offset1:22
	ds_read2st64_b32 v[32:33], v25 offset0:28 offset1:30
	v_mov_b32_e32 v22, v37
	v_mov_b32_e32 v66, v37
	;; [unrolled: 1-line block ×3, first 2 shown]
	ds_read2st64_b32 v[38:39], v25 offset0:16 offset1:18
	ds_read2st64_b32 v[36:37], v25 offset0:36 offset1:38
	;; [unrolled: 1-line block ×3, first 2 shown]
	global_load_dwordx2 v[58:59], v[56:57], off offset:16
	v_add_u32_e32 v17, v27, v5
	v_mov_b32_e32 v5, v23
	v_add_u32_e32 v13, v41, v13
	v_add_u32_e32 v11, v40, v11
	v_lshl_add_u64 v[40:41], v[2:3], 0, v[4:5]
	v_add_co_u32_e32 v76, vcc, s2, v40
	s_movk_i32 s3, 0x2000
	s_nop 0
	v_addc_co_u32_e32 v77, vcc, 0, v41, vcc
	v_add_co_u32_e32 v78, vcc, s3, v40
	ds_read_b32 v13, v13
	ds_read_b32 v17, v17
	;; [unrolled: 1-line block ×3, first 2 shown]
	v_addc_co_u32_e32 v79, vcc, 0, v41, vcc
	v_add_co_u32_e32 v80, vcc, s2, v54
	v_lshl_add_u64 v[82:83], v[54:55], 0, s[0:1]
	s_nop 0
	v_addc_co_u32_e32 v81, vcc, 0, v55, vcc
	s_waitcnt lgkmcnt(8)
	v_mov_b32_e32 v84, v63
	v_mov_b32_e32 v73, v62
	global_load_dwordx4 v[54:57], v[80:81], off offset:992
	global_load_dwordx2 v[62:63], v[82:83], off offset:16
	s_waitcnt lgkmcnt(6)
	v_mov_b32_e32 v86, v33
	s_movk_i32 s3, 0x3000
	v_mul_i32_i24_e32 v1, -12, v1
	v_add_u32_e32 v1, v44, v1
	v_lshl_add_u64 v[74:75], v[28:29], 0, s[0:1]
	s_waitcnt vmcnt(5)
	v_pk_mul_f32 v[80:81], v[48:49], v[64:65] op_sel_hi:[1,0]
	v_pk_mul_f32 v[82:83], v[46:47], v[84:85] op_sel_hi:[1,0]
	s_waitcnt vmcnt(4)
	v_pk_mul_f32 v[84:85], v[60:61], v[86:87] op_sel_hi:[1,0]
	v_pk_fma_f32 v[86:87], v[22:23], v[46:47], v[82:83] op_sel:[0,0,1] op_sel_hi:[1,1,0] neg_lo:[0,0,1] neg_hi:[0,0,1]
	v_pk_fma_f32 v[46:47], v[66:67], v[46:47], v[82:83] op_sel:[0,0,1] op_sel_hi:[0,1,0]
	v_pk_fma_f32 v[66:67], v[30:31], v[48:49], v[80:81] op_sel:[0,0,1] op_sel_hi:[1,1,0] neg_lo:[0,0,1] neg_hi:[0,0,1]
	v_pk_fma_f32 v[48:49], v[30:31], v[48:49], v[80:81] op_sel:[0,0,1] op_sel_hi:[0,1,0]
	;; [unrolled: 2-line block ×3, first 2 shown]
	v_mov_b32_e32 v67, v49
	v_mov_b32_e32 v87, v47
	;; [unrolled: 1-line block ×3, first 2 shown]
	v_pk_add_f32 v[46:47], v[72:73], v[66:67] neg_lo:[0,1] neg_hi:[0,1]
	v_pk_add_f32 v[48:49], v[86:87], v[68:69] neg_lo:[0,1] neg_hi:[0,1]
	v_pk_fma_f32 v[68:69], v[72:73], 2.0, v[46:47] op_sel_hi:[1,0,1] neg_lo:[0,0,1] neg_hi:[0,0,1]
	v_pk_add_f32 v[60:61], v[46:47], v[48:49] op_sel:[0,1] op_sel_hi:[1,0] neg_lo:[0,1] neg_hi:[0,1]
	v_pk_add_f32 v[66:67], v[46:47], v[48:49] op_sel:[0,1] op_sel_hi:[1,0]
	v_pk_fma_f32 v[48:49], v[86:87], 2.0, v[48:49] op_sel_hi:[1,0,1] neg_lo:[0,0,1] neg_hi:[0,0,1]
	v_mov_b32_e32 v61, v67
	v_pk_add_f32 v[48:49], v[68:69], v[48:49] neg_lo:[0,1] neg_hi:[0,1]
	v_pk_fma_f32 v[46:47], v[46:47], 2.0, v[60:61] op_sel_hi:[1,0,1] neg_lo:[0,0,1] neg_hi:[0,0,1]
	global_store_dwordx2 v[78:79], v[48:49], off offset:2048
	global_store_dwordx2 v[76:77], v[46:47], off offset:1024
	v_pk_fma_f32 v[46:47], v[68:69], 2.0, v[48:49] op_sel_hi:[1,0,1] neg_lo:[0,0,1] neg_hi:[0,0,1]
	ds_read2st64_b32 v[66:67], v25 offset0:12 offset1:14
	global_store_dwordx2 v[40:41], v[46:47], off
	v_add_co_u32_e32 v46, vcc, s3, v40
	v_mov_b32_e32 v22, v31
	s_nop 0
	v_addc_co_u32_e32 v47, vcc, 0, v41, vcc
	global_store_dwordx2 v[46:47], v[60:61], off offset:3072
	v_mov_b32_e32 v46, v65
	v_mov_b32_e32 v30, v31
	s_waitcnt vmcnt(7)
	v_pk_mul_f32 v[46:47], v[52:53], v[46:47] op_sel_hi:[1,0]
	s_nop 0
	v_pk_fma_f32 v[60:61], v[22:23], v[52:53], v[46:47] op_sel:[0,0,1] op_sel_hi:[1,1,0] neg_lo:[0,0,1] neg_hi:[0,0,1]
	v_pk_fma_f32 v[30:31], v[30:31], v[52:53], v[46:47] op_sel:[0,0,1] op_sel_hi:[0,1,0]
	s_waitcnt lgkmcnt(0)
	v_pk_mul_f32 v[46:47], v[50:51], v[66:67] op_sel_hi:[1,0]
	v_mov_b32_e32 v61, v31
	v_pk_fma_f32 v[52:53], v[20:21], v[50:51], v[46:47] op_sel:[0,0,1] op_sel_hi:[1,1,0] neg_lo:[0,0,1] neg_hi:[0,0,1]
	v_pk_fma_f32 v[50:51], v[20:21], v[50:51], v[46:47] op_sel:[0,0,1] op_sel_hi:[0,1,0]
	v_add_co_u32_e32 v46, vcc, s2, v34
	v_mov_b32_e32 v53, v51
	s_nop 0
	v_addc_co_u32_e32 v47, vcc, 0, v35, vcc
	global_load_dwordx4 v[46:49], v[46:47], off offset:992
	ds_read2st64_b32 v[44:45], v25 offset0:32 offset1:34
	ds_read_b32 v25, v1
	v_pk_add_f32 v[30:31], v[26:27], v[60:61] neg_lo:[0,1] neg_hi:[0,1]
	v_lshl_add_u64 v[34:35], v[34:35], 0, s[0:1]
	global_load_dwordx2 v[34:35], v[34:35], off offset:16
	s_waitcnt vmcnt(8) lgkmcnt(1)
	v_pk_mul_f32 v[50:51], v[58:59], v[44:45] op_sel_hi:[1,0]
	v_pk_fma_f32 v[26:27], v[26:27], 2.0, v[30:31] op_sel_hi:[1,0,1] neg_lo:[0,0,1] neg_hi:[0,0,1]
	v_pk_fma_f32 v[60:61], v[18:19], v[58:59], v[50:51] op_sel:[0,0,1] op_sel_hi:[1,1,0] neg_lo:[0,0,1] neg_hi:[0,0,1]
	v_pk_fma_f32 v[50:51], v[18:19], v[58:59], v[50:51] op_sel:[0,0,1] op_sel_hi:[0,1,0]
	v_mov_b32_e32 v61, v51
	v_pk_add_f32 v[50:51], v[52:53], v[60:61] neg_lo:[0,1] neg_hi:[0,1]
	v_or_b32_e32 v22, 0x1800, v4
	v_pk_fma_f32 v[52:53], v[52:53], 2.0, v[50:51] op_sel_hi:[1,0,1] neg_lo:[0,0,1] neg_hi:[0,0,1]
	v_pk_add_f32 v[58:59], v[30:31], v[50:51] op_sel:[0,1] op_sel_hi:[1,0] neg_lo:[0,1] neg_hi:[0,1]
	v_pk_add_f32 v[52:53], v[26:27], v[52:53] neg_lo:[0,1] neg_hi:[0,1]
	v_pk_add_f32 v[50:51], v[30:31], v[50:51] op_sel:[0,1] op_sel_hi:[1,0]
	v_pk_fma_f32 v[26:27], v[26:27], 2.0, v[52:53] op_sel_hi:[1,0,1] neg_lo:[0,0,1] neg_hi:[0,0,1]
	v_mov_b32_e32 v59, v51
	global_store_dwordx2 v[40:41], v[26:27], off offset:1024
	v_lshl_add_u64 v[26:27], v[2:3], 0, v[22:23]
	v_pk_fma_f32 v[30:31], v[30:31], 2.0, v[58:59] op_sel_hi:[1,0,1] neg_lo:[0,0,1] neg_hi:[0,0,1]
	v_or_b32_e32 v22, 0x2c00, v4
	global_store_dwordx2 v[26:27], v[30:31], off
	v_lshl_add_u64 v[26:27], v[2:3], 0, v[22:23]
	global_store_dwordx2 v[26:27], v[52:53], off
	v_or_b32_e32 v22, 0x4000, v4
	v_add_co_u32_e32 v26, vcc, s2, v28
	v_lshl_add_u64 v[30:31], v[2:3], 0, v[22:23]
	s_nop 0
	v_addc_co_u32_e32 v27, vcc, 0, v29, vcc
	global_load_dwordx4 v[26:29], v[26:27], off offset:992
	v_mov_b32_e32 v20, v67
	global_store_dwordx2 v[30:31], v[58:59], off
	s_waitcnt vmcnt(12)
	v_pk_mul_f32 v[30:31], v[56:57], v[42:43] op_sel_hi:[1,0]
	v_mov_b32_e32 v18, v21
	v_pk_fma_f32 v[50:51], v[14:15], v[56:57], v[30:31] op_sel:[0,0,1] op_sel_hi:[1,1,0] neg_lo:[0,0,1] neg_hi:[0,0,1]
	v_pk_fma_f32 v[30:31], v[14:15], v[56:57], v[30:31] op_sel:[0,0,1] op_sel_hi:[0,1,0]
	v_mov_b32_e32 v51, v31
	v_mov_b32_e32 v14, v21
	v_pk_mul_f32 v[20:21], v[54:55], v[20:21] op_sel_hi:[1,0]
	s_waitcnt lgkmcnt(0)
	v_pk_add_f32 v[30:31], v[24:25], v[50:51] neg_lo:[0,1] neg_hi:[0,1]
	v_pk_fma_f32 v[50:51], v[14:15], v[54:55], v[20:21] op_sel:[0,0,1] op_sel_hi:[1,1,0] neg_lo:[0,0,1] neg_hi:[0,0,1]
	v_pk_fma_f32 v[20:21], v[18:19], v[54:55], v[20:21] op_sel:[0,0,1] op_sel_hi:[0,1,0]
	v_mov_b32_e32 v51, v21
	global_load_dwordx2 v[20:21], v[74:75], off offset:16
	v_mov_b32_e32 v22, v45
	v_mov_b32_e32 v14, v19
	;; [unrolled: 1-line block ×3, first 2 shown]
	s_waitcnt vmcnt(12)
	v_pk_mul_f32 v[44:45], v[62:63], v[22:23] op_sel_hi:[1,0]
	v_pk_fma_f32 v[24:25], v[24:25], 2.0, v[30:31] op_sel_hi:[1,0,1] neg_lo:[0,0,1] neg_hi:[0,0,1]
	v_pk_fma_f32 v[52:53], v[14:15], v[62:63], v[44:45] op_sel:[0,0,1] op_sel_hi:[1,1,0] neg_lo:[0,0,1] neg_hi:[0,0,1]
	v_pk_fma_f32 v[18:19], v[18:19], v[62:63], v[44:45] op_sel:[0,0,1] op_sel_hi:[0,1,0]
	v_mov_b32_e32 v53, v19
	v_pk_add_f32 v[18:19], v[50:51], v[52:53] neg_lo:[0,1] neg_hi:[0,1]
	v_mov_b32_e32 v1, 0x1c00
	v_pk_fma_f32 v[44:45], v[50:51], 2.0, v[18:19] op_sel_hi:[1,0,1] neg_lo:[0,0,1] neg_hi:[0,0,1]
	v_lshl_or_b32 v22, v0, 3, v1
	v_pk_add_f32 v[44:45], v[24:25], v[44:45] neg_lo:[0,1] neg_hi:[0,1]
	v_lshl_add_u64 v[0:1], v[2:3], 0, v[22:23]
	v_pk_fma_f32 v[24:25], v[24:25], 2.0, v[44:45] op_sel_hi:[1,0,1] neg_lo:[0,0,1] neg_hi:[0,0,1]
	v_or_b32_e32 v22, 0x3000, v4
	global_store_dwordx2 v[40:41], v[24:25], off offset:2048
	v_lshl_add_u64 v[24:25], v[2:3], 0, v[22:23]
	global_store_dwordx2 v[24:25], v[44:45], off
	v_pk_add_f32 v[44:45], v[30:31], v[18:19] op_sel:[0,1] op_sel_hi:[1,0] neg_lo:[0,1] neg_hi:[0,1]
	v_pk_add_f32 v[18:19], v[30:31], v[18:19] op_sel:[0,1] op_sel_hi:[1,0]
	v_or_b32_e32 v22, 0x4400, v4
	v_mov_b32_e32 v45, v19
	v_pk_fma_f32 v[18:19], v[30:31], 2.0, v[44:45] op_sel_hi:[1,0,1] neg_lo:[0,0,1] neg_hi:[0,0,1]
	v_lshl_add_u64 v[24:25], v[2:3], 0, v[22:23]
	global_store_dwordx2 v[0:1], v[18:19], off
	global_store_dwordx2 v[24:25], v[44:45], off
	v_mov_b32_e32 v18, v43
	v_mov_b32_e32 v0, v15
	;; [unrolled: 1-line block ×3, first 2 shown]
	v_or_b32_e32 v22, 0x2000, v4
	s_waitcnt vmcnt(11)
	v_pk_mul_f32 v[18:19], v[48:49], v[18:19] op_sel_hi:[1,0]
	s_nop 0
	v_pk_fma_f32 v[0:1], v[0:1], v[48:49], v[18:19] op_sel:[0,0,1] op_sel_hi:[1,1,0] neg_lo:[0,0,1] neg_hi:[0,0,1]
	v_pk_fma_f32 v[14:15], v[14:15], v[48:49], v[18:19] op_sel:[0,0,1] op_sel_hi:[0,1,0]
	v_mov_b32_e32 v1, v15
	v_pk_mul_f32 v[14:15], v[46:47], v[38:39] op_sel_hi:[1,0]
	v_pk_add_f32 v[0:1], v[16:17], v[0:1] neg_lo:[0,1] neg_hi:[0,1]
	v_pk_fma_f32 v[18:19], v[8:9], v[46:47], v[14:15] op_sel:[0,0,1] op_sel_hi:[1,1,0] neg_lo:[0,0,1] neg_hi:[0,0,1]
	v_pk_fma_f32 v[14:15], v[8:9], v[46:47], v[14:15] op_sel:[0,0,1] op_sel_hi:[0,1,0]
	v_mov_b32_e32 v19, v15
	s_waitcnt vmcnt(10)
	v_pk_mul_f32 v[14:15], v[34:35], v[36:37] op_sel_hi:[1,0]
	v_pk_fma_f32 v[16:17], v[16:17], 2.0, v[0:1] op_sel_hi:[1,0,1] neg_lo:[0,0,1] neg_hi:[0,0,1]
	v_pk_fma_f32 v[24:25], v[6:7], v[34:35], v[14:15] op_sel:[0,0,1] op_sel_hi:[1,1,0] neg_lo:[0,0,1] neg_hi:[0,0,1]
	v_pk_fma_f32 v[14:15], v[6:7], v[34:35], v[14:15] op_sel:[0,0,1] op_sel_hi:[0,1,0]
	v_mov_b32_e32 v25, v15
	v_pk_add_f32 v[14:15], v[18:19], v[24:25] neg_lo:[0,1] neg_hi:[0,1]
	v_mov_b32_e32 v6, v9
	v_pk_fma_f32 v[18:19], v[18:19], 2.0, v[14:15] op_sel_hi:[1,0,1] neg_lo:[0,0,1] neg_hi:[0,0,1]
	v_pk_add_f32 v[24:25], v[0:1], v[14:15] op_sel:[0,1] op_sel_hi:[1,0] neg_lo:[0,1] neg_hi:[0,1]
	v_pk_add_f32 v[18:19], v[16:17], v[18:19] neg_lo:[0,1] neg_hi:[0,1]
	v_pk_add_f32 v[14:15], v[0:1], v[14:15] op_sel:[0,1] op_sel_hi:[1,0]
	v_pk_fma_f32 v[16:17], v[16:17], 2.0, v[18:19] op_sel_hi:[1,0,1] neg_lo:[0,0,1] neg_hi:[0,0,1]
	v_mov_b32_e32 v25, v15
	global_store_dwordx2 v[40:41], v[16:17], off offset:3072
	v_lshl_add_u64 v[16:17], v[2:3], 0, v[22:23]
	v_pk_fma_f32 v[0:1], v[0:1], 2.0, v[24:25] op_sel_hi:[1,0,1] neg_lo:[0,0,1] neg_hi:[0,0,1]
	global_store_dwordx2 v[16:17], v[0:1], off
	v_mov_b32_e32 v8, v9
	v_or_b32_e32 v22, 0x3400, v4
	v_lshl_add_u64 v[0:1], v[2:3], 0, v[22:23]
	v_or_b32_e32 v22, 0x4800, v4
	global_store_dwordx2 v[0:1], v[18:19], off
	s_waitcnt vmcnt(9)
	v_pk_mul_f32 v[14:15], v[28:29], v[32:33] op_sel_hi:[1,0]
	v_lshl_add_u64 v[0:1], v[2:3], 0, v[22:23]
	v_pk_fma_f32 v[16:17], v[10:11], v[28:29], v[14:15] op_sel:[0,0,1] op_sel_hi:[1,1,0] neg_lo:[0,0,1] neg_hi:[0,0,1]
	v_pk_fma_f32 v[10:11], v[10:11], v[28:29], v[14:15] op_sel:[0,0,1] op_sel_hi:[0,1,0]
	v_mov_b32_e32 v14, v39
	v_mov_b32_e32 v17, v11
	v_pk_mul_f32 v[14:15], v[26:27], v[14:15] op_sel_hi:[1,0]
	v_pk_add_f32 v[10:11], v[12:13], v[16:17] neg_lo:[0,1] neg_hi:[0,1]
	v_pk_fma_f32 v[16:17], v[6:7], v[26:27], v[14:15] op_sel:[0,0,1] op_sel_hi:[1,1,0] neg_lo:[0,0,1] neg_hi:[0,0,1]
	v_pk_fma_f32 v[8:9], v[8:9], v[26:27], v[14:15] op_sel:[0,0,1] op_sel_hi:[0,1,0]
	v_mov_b32_e32 v14, v37
	v_mov_b32_e32 v6, v7
	;; [unrolled: 1-line block ×4, first 2 shown]
	s_waitcnt vmcnt(7)
	v_pk_mul_f32 v[14:15], v[20:21], v[14:15] op_sel_hi:[1,0]
	v_or_b32_e32 v22, 0x1000, v4
	v_pk_fma_f32 v[6:7], v[6:7], v[20:21], v[14:15] op_sel:[0,0,1] op_sel_hi:[1,1,0] neg_lo:[0,0,1] neg_hi:[0,0,1]
	v_pk_fma_f32 v[8:9], v[8:9], v[20:21], v[14:15] op_sel:[0,0,1] op_sel_hi:[0,1,0]
	v_mov_b32_e32 v7, v9
	v_pk_add_f32 v[6:7], v[16:17], v[6:7] neg_lo:[0,1] neg_hi:[0,1]
	v_pk_fma_f32 v[8:9], v[12:13], 2.0, v[10:11] op_sel_hi:[1,0,1] neg_lo:[0,0,1] neg_hi:[0,0,1]
	v_pk_fma_f32 v[12:13], v[16:17], 2.0, v[6:7] op_sel_hi:[1,0,1] neg_lo:[0,0,1] neg_hi:[0,0,1]
	global_store_dwordx2 v[0:1], v[24:25], off
	v_pk_add_f32 v[12:13], v[8:9], v[12:13] neg_lo:[0,1] neg_hi:[0,1]
	v_lshl_add_u64 v[0:1], v[2:3], 0, v[22:23]
	v_pk_fma_f32 v[8:9], v[8:9], 2.0, v[12:13] op_sel_hi:[1,0,1] neg_lo:[0,0,1] neg_hi:[0,0,1]
	global_store_dwordx2 v[0:1], v[8:9], off
	v_pk_add_f32 v[8:9], v[10:11], v[6:7] op_sel:[0,1] op_sel_hi:[1,0] neg_lo:[0,1] neg_hi:[0,1]
	v_pk_add_f32 v[6:7], v[10:11], v[6:7] op_sel:[0,1] op_sel_hi:[1,0]
	v_or_b32_e32 v22, 0x2400, v4
	v_mov_b32_e32 v9, v7
	v_lshl_add_u64 v[0:1], v[2:3], 0, v[22:23]
	v_pk_fma_f32 v[6:7], v[10:11], 2.0, v[8:9] op_sel_hi:[1,0,1] neg_lo:[0,0,1] neg_hi:[0,0,1]
	v_or_b32_e32 v22, 0x3800, v4
	global_store_dwordx2 v[0:1], v[6:7], off
	v_lshl_add_u64 v[0:1], v[2:3], 0, v[22:23]
	v_or_b32_e32 v22, 0x4c00, v4
	global_store_dwordx2 v[0:1], v[12:13], off
	v_lshl_add_u64 v[0:1], v[2:3], 0, v[22:23]
	global_store_dwordx2 v[0:1], v[8:9], off
.LBB0_15:
	s_endpgm
	.section	.rodata,"a",@progbits
	.p2align	6, 0x0
	.amdhsa_kernel fft_rtc_fwd_len2560_factors_4_4_4_10_4_wgs_128_tpt_128_halfLds_sp_ip_CI_unitstride_sbrr_dirReg
		.amdhsa_group_segment_fixed_size 0
		.amdhsa_private_segment_fixed_size 0
		.amdhsa_kernarg_size 88
		.amdhsa_user_sgpr_count 2
		.amdhsa_user_sgpr_dispatch_ptr 0
		.amdhsa_user_sgpr_queue_ptr 0
		.amdhsa_user_sgpr_kernarg_segment_ptr 1
		.amdhsa_user_sgpr_dispatch_id 0
		.amdhsa_user_sgpr_kernarg_preload_length 0
		.amdhsa_user_sgpr_kernarg_preload_offset 0
		.amdhsa_user_sgpr_private_segment_size 0
		.amdhsa_uses_dynamic_stack 0
		.amdhsa_enable_private_segment 0
		.amdhsa_system_sgpr_workgroup_id_x 1
		.amdhsa_system_sgpr_workgroup_id_y 0
		.amdhsa_system_sgpr_workgroup_id_z 0
		.amdhsa_system_sgpr_workgroup_info 0
		.amdhsa_system_vgpr_workitem_id 0
		.amdhsa_next_free_vgpr 88
		.amdhsa_next_free_sgpr 22
		.amdhsa_accum_offset 88
		.amdhsa_reserve_vcc 1
		.amdhsa_float_round_mode_32 0
		.amdhsa_float_round_mode_16_64 0
		.amdhsa_float_denorm_mode_32 3
		.amdhsa_float_denorm_mode_16_64 3
		.amdhsa_dx10_clamp 1
		.amdhsa_ieee_mode 1
		.amdhsa_fp16_overflow 0
		.amdhsa_tg_split 0
		.amdhsa_exception_fp_ieee_invalid_op 0
		.amdhsa_exception_fp_denorm_src 0
		.amdhsa_exception_fp_ieee_div_zero 0
		.amdhsa_exception_fp_ieee_overflow 0
		.amdhsa_exception_fp_ieee_underflow 0
		.amdhsa_exception_fp_ieee_inexact 0
		.amdhsa_exception_int_div_zero 0
	.end_amdhsa_kernel
	.text
.Lfunc_end0:
	.size	fft_rtc_fwd_len2560_factors_4_4_4_10_4_wgs_128_tpt_128_halfLds_sp_ip_CI_unitstride_sbrr_dirReg, .Lfunc_end0-fft_rtc_fwd_len2560_factors_4_4_4_10_4_wgs_128_tpt_128_halfLds_sp_ip_CI_unitstride_sbrr_dirReg
                                        ; -- End function
	.section	.AMDGPU.csdata,"",@progbits
; Kernel info:
; codeLenInByte = 9808
; NumSgprs: 28
; NumVgprs: 88
; NumAgprs: 0
; TotalNumVgprs: 88
; ScratchSize: 0
; MemoryBound: 0
; FloatMode: 240
; IeeeMode: 1
; LDSByteSize: 0 bytes/workgroup (compile time only)
; SGPRBlocks: 3
; VGPRBlocks: 10
; NumSGPRsForWavesPerEU: 28
; NumVGPRsForWavesPerEU: 88
; AccumOffset: 88
; Occupancy: 5
; WaveLimiterHint : 1
; COMPUTE_PGM_RSRC2:SCRATCH_EN: 0
; COMPUTE_PGM_RSRC2:USER_SGPR: 2
; COMPUTE_PGM_RSRC2:TRAP_HANDLER: 0
; COMPUTE_PGM_RSRC2:TGID_X_EN: 1
; COMPUTE_PGM_RSRC2:TGID_Y_EN: 0
; COMPUTE_PGM_RSRC2:TGID_Z_EN: 0
; COMPUTE_PGM_RSRC2:TIDIG_COMP_CNT: 0
; COMPUTE_PGM_RSRC3_GFX90A:ACCUM_OFFSET: 21
; COMPUTE_PGM_RSRC3_GFX90A:TG_SPLIT: 0
	.text
	.p2alignl 6, 3212836864
	.fill 256, 4, 3212836864
	.type	__hip_cuid_6266a4a12ff8a8ef,@object ; @__hip_cuid_6266a4a12ff8a8ef
	.section	.bss,"aw",@nobits
	.globl	__hip_cuid_6266a4a12ff8a8ef
__hip_cuid_6266a4a12ff8a8ef:
	.byte	0                               ; 0x0
	.size	__hip_cuid_6266a4a12ff8a8ef, 1

	.ident	"AMD clang version 19.0.0git (https://github.com/RadeonOpenCompute/llvm-project roc-6.4.0 25133 c7fe45cf4b819c5991fe208aaa96edf142730f1d)"
	.section	".note.GNU-stack","",@progbits
	.addrsig
	.addrsig_sym __hip_cuid_6266a4a12ff8a8ef
	.amdgpu_metadata
---
amdhsa.kernels:
  - .agpr_count:     0
    .args:
      - .actual_access:  read_only
        .address_space:  global
        .offset:         0
        .size:           8
        .value_kind:     global_buffer
      - .offset:         8
        .size:           8
        .value_kind:     by_value
      - .actual_access:  read_only
        .address_space:  global
        .offset:         16
        .size:           8
        .value_kind:     global_buffer
      - .actual_access:  read_only
        .address_space:  global
        .offset:         24
        .size:           8
        .value_kind:     global_buffer
      - .offset:         32
        .size:           8
        .value_kind:     by_value
      - .actual_access:  read_only
        .address_space:  global
        .offset:         40
        .size:           8
        .value_kind:     global_buffer
      - .actual_access:  read_only
        .address_space:  global
        .offset:         48
        .size:           8
        .value_kind:     global_buffer
      - .offset:         56
        .size:           4
        .value_kind:     by_value
      - .actual_access:  read_only
        .address_space:  global
        .offset:         64
        .size:           8
        .value_kind:     global_buffer
      - .actual_access:  read_only
        .address_space:  global
        .offset:         72
        .size:           8
        .value_kind:     global_buffer
      - .address_space:  global
        .offset:         80
        .size:           8
        .value_kind:     global_buffer
    .group_segment_fixed_size: 0
    .kernarg_segment_align: 8
    .kernarg_segment_size: 88
    .language:       OpenCL C
    .language_version:
      - 2
      - 0
    .max_flat_workgroup_size: 128
    .name:           fft_rtc_fwd_len2560_factors_4_4_4_10_4_wgs_128_tpt_128_halfLds_sp_ip_CI_unitstride_sbrr_dirReg
    .private_segment_fixed_size: 0
    .sgpr_count:     28
    .sgpr_spill_count: 0
    .symbol:         fft_rtc_fwd_len2560_factors_4_4_4_10_4_wgs_128_tpt_128_halfLds_sp_ip_CI_unitstride_sbrr_dirReg.kd
    .uniform_work_group_size: 1
    .uses_dynamic_stack: false
    .vgpr_count:     88
    .vgpr_spill_count: 0
    .wavefront_size: 64
amdhsa.target:   amdgcn-amd-amdhsa--gfx950
amdhsa.version:
  - 1
  - 2
...

	.end_amdgpu_metadata
